;; amdgpu-corpus repo=ROCm/aiter kind=harvested arch=n/a opt=n/a

/root/src/amdgpu-assembly/repos/ROCm__aiter/hsa/gfx942/fmoe/silu/fmoe_bf16_blockscaleFp8_g1u1_novs_silu_1tg_32x128.co:	file format elf64-amdgpu

Disassembly of section .text:

0000000000002e00 <_ZN5aiter49fmoe_bf16_blockscaleFp8_g1u1_novs_silu_1tg_32x128E>:
	s_and_b32 s1, s1, 0xffff                                   // 000000002E00: 8601FF01 0000FFFF
	s_load_dwordx2 s[8:9], s[0:1], 0x0                         // 000000002E08: C0060200 00000000
	s_load_dwordx2 s[20:21], s[0:1], 0x10                      // 000000002E10: C0060500 00000010
	s_load_dwordx2 s[24:25], s[0:1], 0x20                      // 000000002E18: C0060600 00000020
	s_load_dwordx2 s[50:51], s[0:1], 0x30                      // 000000002E20: C0060C80 00000030
	s_load_dwordx2 s[12:13], s[0:1], 0x40                      // 000000002E28: C0060300 00000040
	s_load_dwordx2 s[28:29], s[0:1], 0x50                      // 000000002E30: C0060700 00000050
	s_load_dwordx2 s[32:33], s[0:1], 0x60                      // 000000002E38: C0060800 00000060
	s_load_dwordx2 s[16:17], s[0:1], 0x70                      // 000000002E40: C0060400 00000070
	s_load_dwordx2 s[36:37], s[0:1], 0x80                      // 000000002E48: C0060900 00000080
	s_load_dwordx2 s[44:45], s[0:1], 0x90                      // 000000002E50: C0060B00 00000090
	s_load_dwordx2 s[40:41], s[0:1], 0xa0                      // 000000002E58: C0060A00 000000A0
	s_load_dwordx2 s[46:47], s[0:1], 0xb0                      // 000000002E60: C0060B80 000000B0
	s_load_dword s64, s[0:1], 0xc0                             // 000000002E68: C0021000 000000C0
	s_load_dword s65, s[0:1], 0xd0                             // 000000002E70: C0021040 000000D0
	s_load_dword s66, s[0:1], 0xe0                             // 000000002E78: C0021080 000000E0
	s_load_dword s67, s[0:1], 0xf0                             // 000000002E80: C00210C0 000000F0
	s_load_dword s68, s[0:1], 0x100                            // 000000002E88: C0021100 00000100
	s_load_dword s69, s[0:1], 0x110                            // 000000002E90: C0021140 00000110
	s_load_dword s70, s[0:1], 0x120                            // 000000002E98: C0021180 00000120
	s_load_dword s71, s[0:1], 0x130                            // 000000002EA0: C00211C0 00000130
	s_load_dword s72, s[0:1], 0x140                            // 000000002EA8: C0021200 00000140
	s_load_dword s73, s[0:1], 0x150                            // 000000002EB0: C0021240 00000150
	s_load_dword s74, s[0:1], 0x160                            // 000000002EB8: C0021280 00000160
	s_load_dword s75, s[0:1], 0x170                            // 000000002EC0: C00212C0 00000170
	s_load_dword s76, s[0:1], 0x180                            // 000000002EC8: C0021300 00000180
	v_lshrrev_b32_e32 v1, 10, v0                               // 000000002ED0: 2002008A
	v_lshrrev_b32_e32 v2, 10, v1                               // 000000002ED4: 2004028A
	v_and_b32_e32 v2, 0x3ff, v2                                // 000000002ED8: 260404FF 000003FF
	v_and_b32_e32 v1, 0x3ff, v1                                // 000000002EE0: 260202FF 000003FF
	v_and_b32_e32 v0, 0x3ff, v0                                // 000000002EE8: 260000FF 000003FF
	v_lshrrev_b32_e32 v3, 6, v0                                // 000000002EF0: 20060086
	v_and_b32_e32 v0, 63, v0                                   // 000000002EF4: 260000BF
	s_mov_b32 s2, s2                                           // 000000002EF8: BE820002
	s_mov_b32 s3, s3                                           // 000000002EFC: BE830003
	s_mov_b32 s4, s4                                           // 000000002F00: BE840004
	v_readfirstlane_b32 s7, v3                                 // 000000002F04: 7E0E0503
	s_waitcnt lgkmcnt(0)                                       // 000000002F08: BF8CC07F
	s_and_b32 s51, s51, 0xffff                                 // 000000002F0C: 8633FF33 0000FFFF
	s_load_dword s50, s[50:51], 0x0                            // 000000002F14: C0020C99 00000000
	s_and_b32 s45, s45, 0xffff                                 // 000000002F1C: 862DFF2D 0000FFFF
	s_and_b32 s47, s47, 0xffff                                 // 000000002F24: 862FFF2F 0000FFFF
	s_and_b32 s9, s9, 0xffff                                   // 000000002F2C: 8609FF09 0000FFFF
	s_mul_i32 s60, s66, s68                                    // 000000002F34: 923C4442
	s_mul_i32 s61, s66, 4                                      // 000000002F38: 923D8442
	s_mov_b32 s22, s60                                         // 000000002F3C: BE96003C
	s_mov_b32 s26, -16                                         // 000000002F40: BE9A00D0
	s_mov_b32 s14, -16                                         // 000000002F44: BE8E00D0
	s_mov_b32 s42, -16                                         // 000000002F48: BEAA00D0
	s_mov_b32 s30, -16                                         // 000000002F4C: BE9E00D0
	s_mov_b32 s34, -16                                         // 000000002F50: BEA200D0
	s_mov_b32 s38, -16                                         // 000000002F54: BEA600D0
	s_mov_b32 s18, -16                                         // 000000002F58: BE9200D0
	s_mov_b32 s23, 0x20000                                     // 000000002F5C: BE9700FF 00020000
	s_mov_b32 s27, 0x20000                                     // 000000002F64: BE9B00FF 00020000
	s_mov_b32 s15, 0x20000                                     // 000000002F6C: BE8F00FF 00020000
	s_mov_b32 s43, 0x20000                                     // 000000002F74: BEAB00FF 00020000
	s_mov_b32 s31, 0x20000                                     // 000000002F7C: BE9F00FF 00020000
	s_mov_b32 s35, 0x20000                                     // 000000002F84: BEA300FF 00020000
	s_mov_b32 s39, 0x20000                                     // 000000002F8C: BEA700FF 00020000
	s_mov_b32 s19, 0x20000                                     // 000000002F94: BE9300FF 00020000
	s_and_b32 s21, s21, 0xffff                                 // 000000002F9C: 8615FF15 0000FFFF
	s_and_b32 s25, s25, 0xffff                                 // 000000002FA4: 8619FF19 0000FFFF
	s_and_b32 s13, s13, 0xffff                                 // 000000002FAC: 860DFF0D 0000FFFF
	s_and_b32 s41, s41, 0xffff                                 // 000000002FB4: 8629FF29 0000FFFF
	s_and_b32 s29, s29, 0xffff                                 // 000000002FBC: 861DFF1D 0000FFFF
	s_and_b32 s33, s33, 0xffff                                 // 000000002FC4: 8621FF21 0000FFFF
	s_and_b32 s37, s37, 0xffff                                 // 000000002FCC: 8625FF25 0000FFFF
	s_and_b32 s17, s17, 0xffff                                 // 000000002FD4: 8611FF11 0000FFFF
	s_or_b32 s21, s21, 0x40000                                 // 000000002FDC: 8715FF15 00040000
	s_or_b32 s25, s25, 0x40000                                 // 000000002FE4: 8719FF19 00040000
	s_or_b32 s13, s13, 0x40000                                 // 000000002FEC: 870DFF0D 00040000
	s_or_b32 s41, s41, 0x40000                                 // 000000002FF4: 8729FF29 00040000
	s_or_b32 s29, s29, 0x40000                                 // 000000002FFC: 871DFF1D 00040000
	s_or_b32 s33, s33, 0x40000                                 // 000000003004: 8721FF21 00040000
	s_or_b32 s37, s37, 0x40000                                 // 00000000300C: 8725FF25 00040000
	s_or_b32 s17, s17, 0x40000                                 // 000000003014: 8711FF11 00040000
	v_accvgpr_write_b32 a63, 0                                 // 00000000301C: D3D9403F 18000080
	v_mov_b32_e32 v255, 0                                      // 000000003024: 7FFE0280
	s_waitcnt lgkmcnt(0)                                       // 000000003028: BF8CC07F
	s_mul_i32 s60, s3, 32                                      // 00000000302C: 923CA003
	s_cmp_lt_i32 s60, s50                                      // 000000003030: BF04323C
	s_cbranch_scc0 label_12D2                                  // 000000003034: BF841244
	s_mov_b32 s80, 0                                           // 000000003038: BED00080
	s_mov_b32 s81, s64                                         // 00000000303C: BED10040
	s_mul_i32 s60, s3, 4                                       // 000000003040: 923C8403
	s_add_u32 s46, s60, s46                                    // 000000003044: 802E2E3C
	s_addc_u32 s47, 0, s47                                     // 000000003048: 822F2F80
	s_load_dword s5, s[46:47], 0x0                             // 00000000304C: C0020157 00000000
	s_mul_i32 s60, s3, 32                                      // 000000003054: 923CA003
	s_mul_i32 s60, 4, s60                                      // 000000003058: 923C3C84
	v_and_b32_e32 v50, 15, v0                                  // 00000000305C: 2664008F
	v_lshlrev_b32_e32 v50, 2, v50                              // 000000003060: 24646482
	v_add_u32_e32 v50, s60, v50                                // 000000003064: 6864643C
	v_mov_b32_e32 v51, 0                                       // 000000003068: 7E660280
	global_load_dword v7, v50, s[44:45]                        // 00000000306C: DC508000 072C0032
	v_add_u32_e32 v50, 64, v50                                 // 000000003074: 686464C0
	global_load_dword v8, v50, s[44:45]                        // 000000003078: DC508000 082C0032
	s_mul_i32 s60, s3, 32                                      // 000000003080: 923CA003
	s_add_u32 s60, s7, s60                                     // 000000003084: 803C3C07
	s_mul_i32 s60, 4, s60                                      // 000000003088: 923C3C84
	s_add_u32 s44, s60, s44                                    // 00000000308C: 802C2C3C
	s_addc_u32 s45, 0, s45                                     // 000000003090: 822D2D80
	s_load_dword s82, s[44:45], 0x0                            // 000000003094: C0021496 00000000
	s_load_dword s83, s[44:45], 0x10                           // 00000000309C: C00214D6 00000010
	s_load_dword s84, s[44:45], 0x20                           // 0000000030A4: C0021516 00000020
	s_load_dword s85, s[44:45], 0x30                           // 0000000030AC: C0021556 00000030
	s_load_dword s86, s[44:45], 0x40                           // 0000000030B4: C0021596 00000040
	s_load_dword s87, s[44:45], 0x50                           // 0000000030BC: C00215D6 00000050
	s_load_dword s88, s[44:45], 0x60                           // 0000000030C4: C0021616 00000060
	s_load_dword s89, s[44:45], 0x70                           // 0000000030CC: C0021656 00000070
	s_waitcnt lgkmcnt(0)                                       // 0000000030D4: BF8CC07F
	v_lshlrev_b32_e32 v50, 2, v0                               // 0000000030D8: 24640082
	s_and_b32 s82, s82, 0xffffff                               // 0000000030DC: 8652FF52 00FFFFFF
	s_mul_i32 s60, s82, s68                                    // 0000000030E4: 923C4452
	v_add_u32_e64 v32, v50, s60                                // 0000000030E8: D1340020 00007932
	s_and_b32 s83, s83, 0xffffff                               // 0000000030F0: 8653FF53 00FFFFFF
	s_mul_i32 s60, s83, s68                                    // 0000000030F8: 923C4453
	v_add_u32_e64 v33, v50, s60                                // 0000000030FC: D1340021 00007932
	s_and_b32 s84, s84, 0xffffff                               // 000000003104: 8654FF54 00FFFFFF
	s_mul_i32 s60, s84, s68                                    // 00000000310C: 923C4454
	v_add_u32_e64 v34, v50, s60                                // 000000003110: D1340022 00007932
	s_and_b32 s85, s85, 0xffffff                               // 000000003118: 8655FF55 00FFFFFF
	s_mul_i32 s60, s85, s68                                    // 000000003120: 923C4455
	v_add_u32_e64 v35, v50, s60                                // 000000003124: D1340023 00007932
	s_and_b32 s86, s86, 0xffffff                               // 00000000312C: 8656FF56 00FFFFFF
	s_mul_i32 s60, s86, s68                                    // 000000003134: 923C4456
	v_add_u32_e64 v36, v50, s60                                // 000000003138: D1340024 00007932
	s_and_b32 s87, s87, 0xffffff                               // 000000003140: 8657FF57 00FFFFFF
	s_mul_i32 s60, s87, s68                                    // 000000003148: 923C4457
	v_add_u32_e64 v37, v50, s60                                // 00000000314C: D1340025 00007932
	s_and_b32 s88, s88, 0xffffff                               // 000000003154: 8658FF58 00FFFFFF
	s_mul_i32 s60, s88, s68                                    // 00000000315C: 923C4458
	v_add_u32_e64 v38, v50, s60                                // 000000003160: D1340026 00007932
	s_and_b32 s89, s89, 0xffffff                               // 000000003168: 8659FF59 00FFFFFF
	s_mul_i32 s60, s89, s68                                    // 000000003170: 923C4459
	v_add_u32_e64 v39, v50, s60                                // 000000003174: D1340027 00007932
	v_lshlrev_b32_e32 v50, 2, v0                               // 00000000317C: 24640082
	s_mul_i32 s60, s82, s71                                    // 000000003180: 923C4752
	v_add_u32_e64 v80, v50, s60                                // 000000003184: D1340050 00007932
	v_mov_b32_e32 v81, 0                                       // 00000000318C: 7EA20280
	s_mul_i32 s60, s83, s71                                    // 000000003190: 923C4753
	v_add_u32_e64 v82, v50, s60                                // 000000003194: D1340052 00007932
	v_mov_b32_e32 v83, 0                                       // 00000000319C: 7EA60280
	s_mul_i32 s60, s84, s71                                    // 0000000031A0: 923C4754
	v_add_u32_e64 v84, v50, s60                                // 0000000031A4: D1340054 00007932
	v_mov_b32_e32 v85, 0                                       // 0000000031AC: 7EAA0280
	s_mul_i32 s60, s85, s71                                    // 0000000031B0: 923C4755
	v_add_u32_e64 v86, v50, s60                                // 0000000031B4: D1340056 00007932
	v_mov_b32_e32 v87, 0                                       // 0000000031BC: 7EAE0280
	s_mul_i32 s60, s86, s71                                    // 0000000031C0: 923C4756
	v_add_u32_e64 v88, v50, s60                                // 0000000031C4: D1340058 00007932
	v_mov_b32_e32 v89, 0                                       // 0000000031CC: 7EB20280
	s_mul_i32 s60, s87, s71                                    // 0000000031D0: 923C4757
	v_add_u32_e64 v90, v50, s60                                // 0000000031D4: D134005A 00007932
	v_mov_b32_e32 v91, 0                                       // 0000000031DC: 7EB60280
	s_mul_i32 s60, s88, s71                                    // 0000000031E0: 923C4758
	v_add_u32_e64 v92, v50, s60                                // 0000000031E4: D134005C 00007932
	v_mov_b32_e32 v93, 0                                       // 0000000031EC: 7EBA0280
	s_mul_i32 s60, s89, s71                                    // 0000000031F0: 923C4759
	v_add_u32_e64 v94, v50, s60                                // 0000000031F4: D134005E 00007932
	v_mov_b32_e32 v95, 0                                       // 0000000031FC: 7EBE0280
	s_mul_i32 s60, s7, 0x820                                   // 000000003200: 923CFF07 00000820
	s_add_u32 s50, 0, s60                                      // 000000003208: 80323C80
	s_add_u32 s51, 0x2480, s50                                 // 00000000320C: 803332FF 00002480
	v_lshrrev_b32_e32 v50, 4, v0                               // 000000003214: 20640084
	v_lshlrev_b32_e32 v51, 2, v50                              // 000000003218: 24666482
	v_and_b32_e32 v50, 15, v0                                  // 00000000321C: 2664008F
	v_lshrrev_b32_e32 v52, 2, v50                              // 000000003220: 20686482
	v_lshlrev_b32_e32 v52, 6, v52                              // 000000003224: 24686886
	v_add_u32_e32 v51, v52, v51                                // 000000003228: 68666734
	v_and_b32_e32 v50, 3, v0                                   // 00000000322C: 26640083
	v_mul_i32_i24_e32 v52, 0x208, v50                          // 000000003230: 0C6864FF 00000208
	v_add_u32_e32 v51, v52, v51                                // 000000003238: 68666734
	v_lshlrev_b32_e32 v2, 2, v51                               // 00000000323C: 24046682
	s_mul_i32 s60, s2, 0x80                                    // 000000003240: 923CFF02 00000080
	s_mul_i32 s60, s60, s69                                    // 000000003248: 923C453C
	s_mul_i32 s61, s5, s72                                     // 00000000324C: 923D4805
	s_add_u32 s60, s61, s60                                    // 000000003250: 803C3C3D
	s_add_u32 s24, s60, s24                                    // 000000003254: 8018183C
	s_addc_u32 s25, 0, s25                                     // 000000003258: 82191980
	s_mul_i32 s60, s7, 16                                      // 00000000325C: 923C9007
	s_mul_i32 s60, s60, s69                                    // 000000003260: 923C453C
	v_lshlrev_b32_e32 v40, 4, v0                               // 000000003264: 24500084
	v_add_u32_e32 v40, s60, v40                                // 000000003268: 6850503C
	s_mul_i32 s60, 64, s69                                     // 00000000326C: 923C45C0
	v_add_u32_e32 v41, s60, v40                                // 000000003270: 6852503C
	s_mov_b32 s92, s24                                         // 000000003274: BEDC0018
	s_mov_b32 s93, s25                                         // 000000003278: BEDD0019
	s_mov_b32 s94, s26                                         // 00000000327C: BEDE001A
	s_mov_b32 s95, s27                                         // 000000003280: BEDF001B
	s_mul_i32 s60, s69, s65                                    // 000000003284: 923C4145
	s_add_u32 s92, s60, s92                                    // 000000003288: 805C5C3C
	s_addc_u32 s93, 0, s93                                     // 00000000328C: 825D5D80
	s_mul_i32 s60, s2, 0x800                                   // 000000003290: 923CFF02 00000800
	s_mul_i32 s61, s5, s73                                     // 000000003298: 923D4905
	s_add_u32 s60, s61, s60                                    // 00000000329C: 803C3C3D
	s_add_u32 s12, s60, s12                                    // 0000000032A0: 800C0C3C
	s_addc_u32 s13, 0, s13                                     // 0000000032A4: 820D0D80
	s_mul_i32 s60, s7, 16                                      // 0000000032A8: 923C9007
	s_mul_i32 s60, s60, s70                                    // 0000000032AC: 923C463C
	v_lshlrev_b32_e32 v42, 4, v0                               // 0000000032B0: 24540084
	v_add_u32_e32 v42, s60, v42                                // 0000000032B4: 6854543C
	s_mul_i32 s60, 64, s70                                     // 0000000032B8: 923C46C0
	v_add_u32_e32 v43, s60, v42                                // 0000000032BC: 6856543C
	v_add_u32_e32 v44, s60, v43                                // 0000000032C0: 6858563C
	v_add_u32_e32 v45, s60, v44                                // 0000000032C4: 685A583C
	s_mul_i32 s60, s70, 0x100                                  // 0000000032C8: 923CFF46 00000100
	s_mov_b32 s78, 0x400                                       // 0000000032D0: BECE00FF 00000400
	s_mul_i32 s61, s78, 1                                      // 0000000032D8: 923D814E
	s_sub_u32 s56, s60, s61                                    // 0000000032DC: 80B83D3C
	s_mul_i32 s60, s3, 32                                      // 0000000032E0: 923CA003
	s_mul_i32 s60, 4, s60                                      // 0000000032E4: 923C3C84
	s_add_u32 s40, s60, s40                                    // 0000000032E8: 8028283C
	s_addc_u32 s41, 0, s41                                     // 0000000032EC: 82292980
	v_and_b32_e32 v50, 15, v0                                  // 0000000032F0: 2664008F
	v_lshlrev_b32_e32 v9, 2, v50                               // 0000000032F4: 24126482
	v_add_u32_e32 v10, 64, v9                                  // 0000000032F8: 681412C0
	s_lshr_b32 s60, s64, 7                                     // 0000000032FC: 8F3C8740
	s_mul_i32 s61, s60, 4                                      // 000000003300: 923D843C
	v_and_b32_e64 v11, v0, 1                                   // 000000003304: D113000B 00010300
	v_mul_i32_i24_e64 v11, v11, s61                            // 00000000330C: D106000B 00007B0B
	v_mov_b32_e32 v11, 0                                       // 000000003314: 7E160280
	v_and_b32_e64 v50, v0, 3                                   // 000000003318: D1130032 00010700
	v_lshrrev_b32_e32 v50, 1, v50                              // 000000003320: 20646481
	v_mul_i32_i24_e32 v50, 4, v50                              // 000000003324: 0C646484
	v_add_u32_e32 v11, v11, v50                                // 000000003328: 6816650B
	s_lshr_b32 s60, s65, 7                                     // 00000000332C: 8F3C8741
	s_mul_i32 s60, s60, s61                                    // 000000003330: 923C3D3C
	v_add_u32_e64 v13, v11, s60                                // 000000003334: D134000D 0000790B
	s_mov_b32 s4, 8                                            // 00000000333C: BE840088
	s_mul_i32 s60, s2, 1                                       // 000000003340: 923C8102
	s_mul_i32 s60, s60, s61                                    // 000000003344: 923C3D3C
	s_mul_i32 s61, s5, s74                                     // 000000003348: 923D4A05
	s_add_u32 s61, s61, s60                                    // 00000000334C: 803D3C3D
	s_add_u32 s32, s61, s32                                    // 000000003350: 8020203D
	s_addc_u32 s33, 0, s33                                     // 000000003354: 82212180
	s_lshr_b32 s60, s65, 7                                     // 000000003358: 8F3C8741
	s_mul_i32 s61, s60, 4                                      // 00000000335C: 923D843C
	s_mul_i32 s60, s2, 1                                       // 000000003360: 923C8102
	s_mul_i32 s60, s60, 4                                      // 000000003364: 923C843C
	v_and_b32_e64 v6, v0, 1                                    // 000000003368: D1130006 00010300
	v_mul_i32_i24_e64 v6, v6, s61                              // 000000003370: D1060006 00007B06
	v_and_b32_e64 v50, v0, 3                                   // 000000003378: D1130032 00010700
	v_lshrrev_b32_e32 v50, 1, v50                              // 000000003380: 20646481
	v_mul_i32_i24_e32 v50, 4, v50                              // 000000003384: 0C646484
	v_mov_b32_e32 v50, 0                                       // 000000003388: 7E640280
	v_add_i32 v6, v6, v50                                      // 00000000338C: D29C0006 00026506
	v_add_i32 v6, v6, s60                                      // 000000003394: D29C0006 00007906
	s_mul_i32 s60, s5, s75                                     // 00000000339C: 923C4B05
	s_add_u32 s16, s60, s16                                    // 0000000033A0: 8010103C
	s_addc_u32 s17, 0, s17                                     // 0000000033A4: 82111180
	s_mov_b32 s57, 0x100                                       // 0000000033A8: BEB900FF 00000100
	s_mov_b32 s58, 0x1000                                      // 0000000033B0: BEBA00FF 00001000
	s_mul_i32 s79, 2, s61                                      // 0000000033B8: 924F3D82
	s_mov_b32 s59, 0x200                                       // 0000000033BC: BEBB00FF 00000200
	s_mov_b32 s90, s58                                         // 0000000033C4: BEDA003A
	s_mov_b32 s52, 0x7060302                                   // 0000000033C8: BEB400FF 07060302
	s_mov_b32 s53, 0x400                                       // 0000000033D0: BEB500FF 00000400
	s_mov_b32 s54, 0x40100                                     // 0000000033D8: BEB600FF 00040100
	s_mov_b32 s55, 0x4020100                                   // 0000000033E0: BEB700FF 04020100
	s_mov_b32 s6, 0x3fb8aa3b                                   // 0000000033E8: BE8600FF 3FB8AA3B
	s_mov_b32 s77, 0xbd92220c                                  // 0000000033F0: BECD00FF BD92220C
	s_mov_b32 m0, s50                                          // 0000000033F8: BEFC0032
	v_mov_b32_e32 v1, 0xbfcc4231                               // 0000000033FC: 7E0202FF BFCC4231
	v_mov_b32_e32 v47, 0xffff0000                              // 000000003404: 7E5E02FF FFFF0000
	v_mov_b32_e32 v48, 0x7fff0000                              // 00000000340C: 7E6002FF 7FFF0000
	v_mov_b32_e32 v49, 0x7fff                                  // 000000003414: 7E6202FF 00007FFF
	s_waitcnt vmcnt(0) expcnt(0) lgkmcnt(0)                    // 00000000341C: BF8C0000
	v_and_b32_e32 v7, 0xffffff, v7                             // 000000003420: 260E0EFF 00FFFFFF
	v_and_b32_e32 v8, 0xffffff, v8                             // 000000003428: 261010FF 00FFFFFF
	v_lshlrev_b32_e32 v7, 2, v7                                // 000000003430: 240E0E82
	v_lshlrev_b32_e32 v8, 2, v8                                // 000000003434: 24101082
	s_lshr_b32 s60, s7, 1                                      // 000000003438: 8F3C8107
	s_lshl_b32 s3, s66, 2                                      // 00000000343C: 8E038242
	s_mul_i32 s60, s60, s3                                     // 000000003440: 923C033C
	s_add_u32 s28, s28, s60                                    // 000000003444: 801C3C1C
	s_addc_u32 s29, 0, s29                                     // 000000003448: 821D1D80
	s_mov_b32 s30, s3                                          // 00000000344C: BE9E0003
	s_lshl_b32 s3, s3, 1                                       // 000000003450: 8E038103
	s_and_b32 s61, s7, 1                                       // 000000003454: 863D8107
	s_cmp_eq_u32 s61, 1                                        // 000000003458: BF06813D
	s_cselect_b32 s60, 0, 1                                    // 00000000345C: 853C8180
	v_mul_i32_i24_e64 v50, v7, s60                             // 000000003460: D1060032 00007907
	v_mul_i32_i24_e64 v51, v8, s61                             // 000000003468: D1060033 00007B08
	v_add_u32_e32 v50, v50, v51                                // 000000003470: 68646732
	v_mov_b32_e32 v7, v50                                      // 000000003474: 7E0E0332
	s_mul_i32 s60, s7, 0x100                                   // 000000003478: 923CFF07 00000100
	s_sub_u32 s61, 4, s7                                       // 000000003480: 80BD0784
	s_mul_i32 s61, s61, 0x820                                  // 000000003484: 923DFF3D 00000820
	s_add_u32 s76, s60, s61                                    // 00000000348C: 804C3D3C
	v_lshlrev_b32_e32 v3, 2, v0                                // 000000003490: 24060082
	buffer_load_dword v23, v11, s[32:35], 0 offen              // 000000003494: E0501000 8008170B
	buffer_load_dword v25, v9, s[40:43], 0 offen               // 00000000349C: E0501000 800A1909
	buffer_load_dword v26, v10, s[40:43], 0 offen              // 0000000034A4: E0501000 800A1A0A
	buffer_load_dword v32, s[20:23], 0 offen lds               // 0000000034AC: E0511000 80050020
	s_add_u32 m0, 0x100, s50                                   // 0000000034B4: 807C32FF 00000100
	buffer_load_dword v33, s[20:23], 0 offen lds               // 0000000034BC: E0511000 80050021
	s_add_u32 m0, 0x200, s50                                   // 0000000034C4: 807C32FF 00000200
	buffer_load_dword v34, s[20:23], 0 offen lds               // 0000000034CC: E0511000 80050022
	s_add_u32 m0, 0x300, s50                                   // 0000000034D4: 807C32FF 00000300
	buffer_load_dword v35, s[20:23], 0 offen lds               // 0000000034DC: E0511000 80050023
	s_add_u32 m0, 0x400, s50                                   // 0000000034E4: 807C32FF 00000400
	buffer_load_dword v36, s[20:23], 0 offen lds               // 0000000034EC: E0511000 80050024
	s_add_u32 m0, 0x500, s50                                   // 0000000034F4: 807C32FF 00000500
	buffer_load_dword v37, s[20:23], 0 offen lds               // 0000000034FC: E0511000 80050025
	s_add_u32 m0, 0x600, s50                                   // 000000003504: 807C32FF 00000600
	buffer_load_dword v38, s[20:23], 0 offen lds               // 00000000350C: E0511000 80050026
	s_add_u32 m0, 0x700, s50                                   // 000000003514: 807C32FF 00000700
	buffer_load_dword v39, s[20:23], 0 offen lds               // 00000000351C: E0511000 80050027
	s_add_u32 m0, s50, s76                                     // 000000003524: 807C4C32
	buffer_load_dword v7, s[28:31], 0 offen lds                // 000000003528: E0511000 80070007
	s_add_u32 m0, 0, s51                                       // 000000003530: 807C3380
	s_add_u32 s20, s57, s20                                    // 000000003534: 80141439
	s_addc_u32 s21, 0, s21                                     // 000000003538: 82151580
	s_add_u32 s28, s3, s28                                     // 00000000353C: 801C1C03
	s_addc_u32 s29, 0, s29                                     // 000000003540: 821D1D80
	buffer_load_dwordx4 a[0:3], v40, s[24:27], 0 offen         // 000000003544: E05C1000 80860028
	buffer_load_dwordx4 a[4:7], v40, s[24:27], 0 offen offset:1024// 00000000354C: E05C1400 80860428
	buffer_load_dwordx4 a[16:19], v41, s[24:27], 0 offen       // 000000003554: E05C1000 80861029
	buffer_load_dwordx4 a[20:23], v41, s[24:27], 0 offen offset:1024// 00000000355C: E05C1400 80861429
	buffer_load_dwordx4 a[8:11], v40, s[24:27], 0 offen offset:2048// 000000003564: E05C1800 80860828
	buffer_load_dwordx4 a[12:15], v40, s[24:27], 0 offen offset:3072// 00000000356C: E05C1C00 80860C28
	buffer_load_dwordx4 a[24:27], v41, s[24:27], 0 offen offset:2048// 000000003574: E05C1800 80861829
	buffer_load_dwordx4 a[28:31], v41, s[24:27], 0 offen offset:3072// 00000000357C: E05C1C00 80861C29
	s_add_u32 s24, s58, s24                                    // 000000003584: 8018183A
	s_addc_u32 s25, 0, s25                                     // 000000003588: 82191980
	v_mov_b32_e32 v128, 0                                      // 00000000358C: 7F000280
	v_mov_b32_e32 v64, 0                                       // 000000003590: 7E800280
	v_mov_b32_e32 v129, 0                                      // 000000003594: 7F020280
	v_mov_b32_e32 v65, 0                                       // 000000003598: 7E820280
	v_mov_b32_e32 v130, 0                                      // 00000000359C: 7F040280
	v_mov_b32_e32 v66, 0                                       // 0000000035A0: 7E840280
	v_mov_b32_e32 v131, 0                                      // 0000000035A4: 7F060280
	v_mov_b32_e32 v67, 0                                       // 0000000035A8: 7E860280
	v_mov_b32_e32 v132, 0                                      // 0000000035AC: 7F080280
	v_mov_b32_e32 v68, 0                                       // 0000000035B0: 7E880280
	v_mov_b32_e32 v133, 0                                      // 0000000035B4: 7F0A0280
	v_mov_b32_e32 v69, 0                                       // 0000000035B8: 7E8A0280
	v_mov_b32_e32 v134, 0                                      // 0000000035BC: 7F0C0280
	v_mov_b32_e32 v70, 0                                       // 0000000035C0: 7E8C0280
	v_mov_b32_e32 v135, 0                                      // 0000000035C4: 7F0E0280
	v_mov_b32_e32 v71, 0                                       // 0000000035C8: 7E8E0280
	v_mov_b32_e32 v136, 0                                      // 0000000035CC: 7F100280
	v_mov_b32_e32 v72, 0                                       // 0000000035D0: 7E900280
	v_mov_b32_e32 v137, 0                                      // 0000000035D4: 7F120280
	v_mov_b32_e32 v73, 0                                       // 0000000035D8: 7E920280
	v_mov_b32_e32 v138, 0                                      // 0000000035DC: 7F140280
	v_mov_b32_e32 v74, 0                                       // 0000000035E0: 7E940280
	v_mov_b32_e32 v139, 0                                      // 0000000035E4: 7F160280
	v_mov_b32_e32 v75, 0                                       // 0000000035E8: 7E960280
	v_mov_b32_e32 v140, 0                                      // 0000000035EC: 7F180280
	v_mov_b32_e32 v76, 0                                       // 0000000035F0: 7E980280
	v_mov_b32_e32 v141, 0                                      // 0000000035F4: 7F1A0280
	v_mov_b32_e32 v77, 0                                       // 0000000035F8: 7E9A0280
	v_mov_b32_e32 v142, 0                                      // 0000000035FC: 7F1C0280
	v_mov_b32_e32 v78, 0                                       // 000000003600: 7E9C0280
	v_mov_b32_e32 v143, 0                                      // 000000003604: 7F1E0280
	v_mov_b32_e32 v79, 0                                       // 000000003608: 7E9E0280
	v_mov_b32_e32 v144, 0                                      // 00000000360C: 7F200280
	v_mov_b32_e32 v80, 0                                       // 000000003610: 7EA00280
	v_mov_b32_e32 v145, 0                                      // 000000003614: 7F220280
	v_mov_b32_e32 v81, 0                                       // 000000003618: 7EA20280
	v_mov_b32_e32 v146, 0                                      // 00000000361C: 7F240280
	v_mov_b32_e32 v82, 0                                       // 000000003620: 7EA40280
	v_mov_b32_e32 v147, 0                                      // 000000003624: 7F260280
	v_mov_b32_e32 v83, 0                                       // 000000003628: 7EA60280
	v_mov_b32_e32 v148, 0                                      // 00000000362C: 7F280280
	v_mov_b32_e32 v84, 0                                       // 000000003630: 7EA80280
	v_mov_b32_e32 v149, 0                                      // 000000003634: 7F2A0280
	v_mov_b32_e32 v85, 0                                       // 000000003638: 7EAA0280
	v_mov_b32_e32 v150, 0                                      // 00000000363C: 7F2C0280
	v_mov_b32_e32 v86, 0                                       // 000000003640: 7EAC0280
	v_mov_b32_e32 v151, 0                                      // 000000003644: 7F2E0280
	v_mov_b32_e32 v87, 0                                       // 000000003648: 7EAE0280
	v_mov_b32_e32 v152, 0                                      // 00000000364C: 7F300280
	v_mov_b32_e32 v88, 0                                       // 000000003650: 7EB00280
	v_mov_b32_e32 v153, 0                                      // 000000003654: 7F320280
	v_mov_b32_e32 v89, 0                                       // 000000003658: 7EB20280
	v_mov_b32_e32 v154, 0                                      // 00000000365C: 7F340280
	v_mov_b32_e32 v90, 0                                       // 000000003660: 7EB40280
	v_mov_b32_e32 v155, 0                                      // 000000003664: 7F360280
	v_mov_b32_e32 v91, 0                                       // 000000003668: 7EB60280
	v_mov_b32_e32 v156, 0                                      // 00000000366C: 7F380280
	v_mov_b32_e32 v92, 0                                       // 000000003670: 7EB80280
	v_mov_b32_e32 v157, 0                                      // 000000003674: 7F3A0280
	v_mov_b32_e32 v93, 0                                       // 000000003678: 7EBA0280
	v_mov_b32_e32 v158, 0                                      // 00000000367C: 7F3C0280
	v_mov_b32_e32 v94, 0                                       // 000000003680: 7EBC0280
	v_mov_b32_e32 v159, 0                                      // 000000003684: 7F3E0280
	v_mov_b32_e32 v95, 0                                       // 000000003688: 7EBE0280
	v_lshrrev_b32_e32 v50, 4, v0                               // 00000000368C: 20640084
	v_mul_i32_i24_e32 v4, 34, v50                              // 000000003690: 0C0864A2
	v_and_b32_e32 v50, 15, v0                                  // 000000003694: 2664008F
	v_mul_i32_i24_e32 v51, 2, v50                              // 000000003698: 0C666482
	v_add_u32_e32 v4, v51, v4                                  // 00000000369C: 68080933
	s_mul_i32 s60, s7, 0x88                                    // 0000000036A0: 923CFF07 00000088
	v_add_u32_e32 v4, s60, v4                                  // 0000000036A8: 6808083C
	v_lshlrev_b32_e32 v4, 2, v4                                // 0000000036AC: 24080882
	v_lshrrev_b32_e32 v50, 1, v0                               // 0000000036B0: 20640081
	v_mul_i32_i24_e32 v5, 34, v50                              // 0000000036B4: 0C0A64A2
	v_and_b32_e32 v51, 1, v0                                   // 0000000036B8: 26660081
	v_add_u32_e32 v5, v51, v5                                  // 0000000036BC: 680A0B33
	s_mul_i32 s60, s7, 2                                       // 0000000036C0: 923C8207
	v_add_u32_e32 v5, s60, v5                                  // 0000000036C4: 680A0A3C
	v_lshlrev_b32_e32 v5, 2, v5                                // 0000000036C8: 240A0A82
	s_waitcnt vmcnt(8)                                         // 0000000036CC: BF8C0F78
	s_barrier                                                  // 0000000036D0: BF8A0000
	ds_read_b128 v[192:195], v2                                // 0000000036D4: D9FE0000 C0000002
	ds_read_b128 v[196:199], v2 offset:64                      // 0000000036DC: D9FE0040 C4000002
	ds_read_b128 v[200:203], v2 offset:128                     // 0000000036E4: D9FE0080 C8000002
	ds_read_b128 v[204:207], v2 offset:192                     // 0000000036EC: D9FE00C0 CC000002
	ds_read_b128 v[208:211], v2 offset:1024                    // 0000000036F4: D9FE0400 D0000002
	ds_read_b128 v[212:215], v2 offset:1088                    // 0000000036FC: D9FE0440 D4000002
	ds_read_b128 v[216:219], v2 offset:1152                    // 000000003704: D9FE0480 D8000002
	ds_read_b128 v[220:223], v2 offset:1216                    // 00000000370C: D9FE04C0 DC000002
	ds_read_b32 v15, v3 offset:8320                            // 000000003714: D86C2080 0F000003
	ds_read_b32 v16, v3 offset:8576                            // 00000000371C: D86C2180 10000003
	ds_read_b32 v17, v3 offset:8832                            // 000000003724: D86C2280 11000003
	ds_read_b32 v18, v3 offset:9088                            // 00000000372C: D86C2380 12000003
	s_cmp_lt_i32 s7, 2                                         // 000000003734: BF048207
	s_cbranch_scc0 label_0A92                                  // 000000003738: BF840843

000000000000373c <label_024F>:
	s_waitcnt vmcnt(0) lgkmcnt(0)                              // 00000000373C: BF8C0070
	s_barrier                                                  // 000000003740: BF8A0000
	v_mfma_f32_16x16x32_fp8_fp8 v[144:147], a[0:1], v[192:193], 0// 000000003744: D3F30090 0A038100
	v_mfma_f32_16x16x32_fp8_fp8 v[144:147], a[2:3], v[194:195], v[144:147]// 00000000374C: D3F30090 0E438502
	buffer_load_dwordx4 a[32:35], v40, s[92:95], 0 offen       // 000000003754: E05C1000 80972028
	buffer_load_dword v32, s[20:23], 0 offen lds               // 00000000375C: E0511000 80050020
	s_add_u32 m0, 0x100, s51                                   // 000000003764: 807C33FF 00000100
	buffer_load_dword v33, s[20:23], 0 offen lds               // 00000000376C: E0511000 80050021
	s_add_u32 m0, 0x200, s51                                   // 000000003774: 807C33FF 00000200
	v_mfma_f32_16x16x32_fp8_fp8 v[144:147], a[4:5], v[196:197], v[144:147]// 00000000377C: D3F30090 0E438904
	v_mfma_f32_16x16x32_fp8_fp8 v[144:147], a[6:7], v[198:199], v[144:147]// 000000003784: D3F30090 0E438D06
	buffer_load_dword v34, s[20:23], 0 offen lds               // 00000000378C: E0511000 80050022
	s_add_u32 m0, 0x300, s51                                   // 000000003794: 807C33FF 00000300
	buffer_load_dword v35, s[20:23], 0 offen lds               // 00000000379C: E0511000 80050023
	s_add_u32 m0, 0x400, s51                                   // 0000000037A4: 807C33FF 00000400
	v_mfma_f32_16x16x32_fp8_fp8 v[148:151], a[0:1], v[208:209], 0// 0000000037AC: D3F30094 0A03A100
	v_mfma_f32_16x16x32_fp8_fp8 v[148:151], a[2:3], v[210:211], v[148:151]// 0000000037B4: D3F30094 0E53A502
	buffer_load_dwordx4 a[36:39], v40, s[92:95], 0 offen offset:1024// 0000000037BC: E05C1400 80972428
	buffer_load_dword v36, s[20:23], 0 offen lds               // 0000000037C4: E0511000 80050024
	s_add_u32 m0, 0x500, s51                                   // 0000000037CC: 807C33FF 00000500
	buffer_load_dword v37, s[20:23], 0 offen lds               // 0000000037D4: E0511000 80050025
	s_add_u32 m0, 0x600, s51                                   // 0000000037DC: 807C33FF 00000600
	v_mfma_f32_16x16x32_fp8_fp8 v[148:151], a[4:5], v[212:213], v[148:151]// 0000000037E4: D3F30094 0E53A904
	v_mfma_f32_16x16x32_fp8_fp8 v[148:151], a[6:7], v[214:215], v[148:151]// 0000000037EC: D3F30094 0E53AD06
	buffer_load_dword v38, s[20:23], 0 offen lds               // 0000000037F4: E0511000 80050026
	s_add_u32 m0, 0x700, s51                                   // 0000000037FC: 807C33FF 00000700
	buffer_load_dword v39, s[20:23], 0 offen lds               // 000000003804: E0511000 80050027
	s_add_u32 m0, s51, s76                                     // 00000000380C: 807C4C33
	v_mfma_f32_16x16x32_fp8_fp8 v[152:155], a[16:17], v[192:193], 0// 000000003810: D3F30098 0A038110
	v_mfma_f32_16x16x32_fp8_fp8 v[152:155], a[18:19], v[194:195], v[152:155]// 000000003818: D3F30098 0E638512
	buffer_load_dwordx4 a[48:51], v41, s[92:95], 0 offen       // 000000003820: E05C1000 80973029
	v_mfma_f32_16x16x32_fp8_fp8 v[152:155], a[20:21], v[196:197], v[152:155]// 000000003828: D3F30098 0E638914
	v_mfma_f32_16x16x32_fp8_fp8 v[152:155], a[22:23], v[198:199], v[152:155]// 000000003830: D3F30098 0E638D16
	v_mfma_f32_16x16x32_fp8_fp8 v[156:159], a[16:17], v[208:209], 0// 000000003838: D3F3009C 0A03A110
	v_mfma_f32_16x16x32_fp8_fp8 v[156:159], a[18:19], v[210:211], v[156:159]// 000000003840: D3F3009C 0E73A512
	buffer_load_dwordx4 a[52:55], v41, s[92:95], 0 offen offset:1024// 000000003848: E05C1400 80973429
	v_mfma_f32_16x16x32_fp8_fp8 v[156:159], a[20:21], v[212:213], v[156:159]// 000000003850: D3F3009C 0E73A914
	v_mfma_f32_16x16x32_fp8_fp8 v[156:159], a[22:23], v[214:215], v[156:159]// 000000003858: D3F3009C 0E73AD16
	buffer_load_dword v7, s[28:31], 0 offen lds                // 000000003860: E0511000 80070007
	s_add_u32 m0, 0, s50                                       // 000000003868: 807C3280
	buffer_load_dword v24, v13, s[32:35], 0 offen              // 00000000386C: E0501000 8008180D
	v_mul_f32_dpp v50, v23, v15 row_newbcast:0 row_mask:0xf bank_mask:0xf// 000000003874: 0A641EFA FF015017
	v_mov_b32_e32 v51, v50                                     // 00000000387C: 7E660332
	v_pk_fma_f32 v[128:129], v[144:145], v[50:51], v[128:129]  // 000000003880: D3B04080 1E026590
	v_pk_fma_f32 v[130:131], v[146:147], v[50:51], v[130:131]  // 000000003888: D3B04082 1E0A6592
	v_pk_fma_f32 v[136:137], v[152:153], v[50:51], v[136:137]  // 000000003890: D3B04088 1E226598
	v_pk_fma_f32 v[138:139], v[154:155], v[50:51], v[138:139]  // 000000003898: D3B0408A 1E2A659A
	v_mul_f32_dpp v50, v23, v16 row_newbcast:0 row_mask:0xf bank_mask:0xf// 0000000038A0: 0A6420FA FF015017
	v_mov_b32_e32 v51, v50                                     // 0000000038A8: 7E660332
	v_pk_fma_f32 v[132:133], v[148:149], v[50:51], v[132:133]  // 0000000038AC: D3B04084 1E126594
	v_pk_fma_f32 v[134:135], v[150:151], v[50:51], v[134:135]  // 0000000038B4: D3B04086 1E1A6596
	v_pk_fma_f32 v[140:141], v[156:157], v[50:51], v[140:141]  // 0000000038BC: D3B0408C 1E32659C
	v_pk_fma_f32 v[142:143], v[158:159], v[50:51], v[142:143]  // 0000000038C4: D3B0408E 1E3A659E
	v_mfma_f32_16x16x32_fp8_fp8 v[144:147], a[8:9], v[200:201], 0// 0000000038CC: D3F30090 0A039108
	v_mfma_f32_16x16x32_fp8_fp8 v[144:147], a[10:11], v[202:203], v[144:147]// 0000000038D4: D3F30090 0E43950A
	buffer_load_dwordx4 a[40:43], v40, s[92:95], 0 offen offset:2048// 0000000038DC: E05C1800 80972828
	v_mfma_f32_16x16x32_fp8_fp8 v[144:147], a[12:13], v[204:205], v[144:147]// 0000000038E4: D3F30090 0E43990C
	v_mfma_f32_16x16x32_fp8_fp8 v[144:147], a[14:15], v[206:207], v[144:147]// 0000000038EC: D3F30090 0E439D0E
	v_mfma_f32_16x16x32_fp8_fp8 v[148:151], a[8:9], v[216:217], 0// 0000000038F4: D3F30094 0A03B108
	v_mfma_f32_16x16x32_fp8_fp8 v[148:151], a[10:11], v[218:219], v[148:151]// 0000000038FC: D3F30094 0E53B50A
	buffer_load_dwordx4 a[44:47], v40, s[92:95], 0 offen offset:3072// 000000003904: E05C1C00 80972C28
	v_mfma_f32_16x16x32_fp8_fp8 v[148:151], a[12:13], v[220:221], v[148:151]// 00000000390C: D3F30094 0E53B90C
	v_mfma_f32_16x16x32_fp8_fp8 v[148:151], a[14:15], v[222:223], v[148:151]// 000000003914: D3F30094 0E53BD0E
	v_mfma_f32_16x16x32_fp8_fp8 v[152:155], a[24:25], v[200:201], 0// 00000000391C: D3F30098 0A039118
	v_mfma_f32_16x16x32_fp8_fp8 v[152:155], a[26:27], v[202:203], v[152:155]// 000000003924: D3F30098 0E63951A
	buffer_load_dwordx4 a[56:59], v41, s[92:95], 0 offen offset:2048// 00000000392C: E05C1800 80973829
	v_mfma_f32_16x16x32_fp8_fp8 v[152:155], a[28:29], v[204:205], v[152:155]// 000000003934: D3F30098 0E63991C
	v_mfma_f32_16x16x32_fp8_fp8 v[152:155], a[30:31], v[206:207], v[152:155]// 00000000393C: D3F30098 0E639D1E
	v_mfma_f32_16x16x32_fp8_fp8 v[156:159], a[24:25], v[216:217], 0// 000000003944: D3F3009C 0A03B118
	v_mfma_f32_16x16x32_fp8_fp8 v[156:159], a[26:27], v[218:219], v[156:159]// 00000000394C: D3F3009C 0E73B51A
	buffer_load_dwordx4 a[60:63], v41, s[92:95], 0 offen offset:3072// 000000003954: E05C1C00 80973C29
	v_mfma_f32_16x16x32_fp8_fp8 v[156:159], a[28:29], v[220:221], v[156:159]// 00000000395C: D3F3009C 0E73B91C
	v_mfma_f32_16x16x32_fp8_fp8 v[156:159], a[30:31], v[222:223], v[156:159]// 000000003964: D3F3009C 0E73BD1E
	v_mul_f32_dpp v50, v23, v17 row_newbcast:2 row_mask:0xf bank_mask:0xf// 00000000396C: 0A6422FA FF015217
	v_mov_b32_e32 v51, v50                                     // 000000003974: 7E660332
	v_pk_fma_f32 v[128:129], v[144:145], v[50:51], v[128:129]  // 000000003978: D3B04080 1E026590
	v_pk_fma_f32 v[130:131], v[146:147], v[50:51], v[130:131]  // 000000003980: D3B04082 1E0A6592
	v_pk_fma_f32 v[136:137], v[152:153], v[50:51], v[136:137]  // 000000003988: D3B04088 1E226598
	v_pk_fma_f32 v[138:139], v[154:155], v[50:51], v[138:139]  // 000000003990: D3B0408A 1E2A659A
	v_mul_f32_dpp v50, v23, v18 row_newbcast:2 row_mask:0xf bank_mask:0xf// 000000003998: 0A6424FA FF015217
	v_mov_b32_e32 v51, v50                                     // 0000000039A0: 7E660332
	v_pk_fma_f32 v[132:133], v[148:149], v[50:51], v[132:133]  // 0000000039A4: D3B04084 1E126594
	v_pk_fma_f32 v[134:135], v[150:151], v[50:51], v[134:135]  // 0000000039AC: D3B04086 1E1A6596
	v_pk_fma_f32 v[140:141], v[156:157], v[50:51], v[140:141]  // 0000000039B4: D3B0408C 1E32659C
	v_pk_fma_f32 v[142:143], v[158:159], v[50:51], v[142:143]  // 0000000039BC: D3B0408E 1E3A659E
	s_add_u32 s60, 0x100, s80                                  // 0000000039C4: 803C50FF 00000100
	s_cmp_lt_u32 s60, s81                                      // 0000000039CC: BF0A513C
	s_cselect_b32 s4, s4, 0                                    // 0000000039D0: 85048004
	s_add_u32 s32, s4, s32                                     // 0000000039D4: 80202004
	s_addc_u32 s33, 0, s33                                     // 0000000039D8: 82212180
	s_waitcnt vmcnt(0)                                         // 0000000039DC: BF8C0F70
	s_barrier                                                  // 0000000039E0: BF8A0000
	v_mfma_f32_16x16x32_fp8_fp8 v[80:83], a[32:33], v[192:193], 0// 0000000039E4: D3F30050 0A038120
	v_mfma_f32_16x16x32_fp8_fp8 v[80:83], a[34:35], v[194:195], v[80:83]// 0000000039EC: D3F30050 0D438522
	buffer_load_dwordx4 a[0:3], v40, s[24:27], 0 offen         // 0000000039F4: E05C1000 80860028
	v_mfma_f32_16x16x32_fp8_fp8 v[80:83], a[36:37], v[196:197], v[80:83]// 0000000039FC: D3F30050 0D438924
	v_mfma_f32_16x16x32_fp8_fp8 v[80:83], a[38:39], v[198:199], v[80:83]// 000000003A04: D3F30050 0D438D26
	buffer_load_dword v23, v11, s[32:35], 0 offen              // 000000003A0C: E0501000 8008170B
	ds_read_b128 v[224:227], v2 offset:9344                    // 000000003A14: D9FE2480 E0000002
	ds_read_b32 v19, v3 offset:17664                           // 000000003A1C: D86C4500 13000003
	v_mfma_f32_16x16x32_fp8_fp8 v[84:87], a[32:33], v[208:209], 0// 000000003A24: D3F30054 0A03A120
	v_mfma_f32_16x16x32_fp8_fp8 v[84:87], a[34:35], v[210:211], v[84:87]// 000000003A2C: D3F30054 0D53A522
	buffer_load_dwordx4 a[4:7], v40, s[24:27], 0 offen offset:1024// 000000003A34: E05C1400 80860428
	v_mfma_f32_16x16x32_fp8_fp8 v[84:87], a[36:37], v[212:213], v[84:87]// 000000003A3C: D3F30054 0D53A924
	v_mfma_f32_16x16x32_fp8_fp8 v[84:87], a[38:39], v[214:215], v[84:87]// 000000003A44: D3F30054 0D53AD26
	ds_read_b128 v[228:231], v2 offset:9408                    // 000000003A4C: D9FE24C0 E4000002
	ds_read_b32 v20, v3 offset:17920                           // 000000003A54: D86C4600 14000003
	v_mfma_f32_16x16x32_fp8_fp8 v[88:91], a[48:49], v[192:193], 0// 000000003A5C: D3F30058 0A038130
	v_mfma_f32_16x16x32_fp8_fp8 v[88:91], a[50:51], v[194:195], v[88:91]// 000000003A64: D3F30058 0D638532
	buffer_load_dwordx4 a[16:19], v41, s[24:27], 0 offen       // 000000003A6C: E05C1000 80861029
	v_mfma_f32_16x16x32_fp8_fp8 v[88:91], a[52:53], v[196:197], v[88:91]// 000000003A74: D3F30058 0D638934
	v_mfma_f32_16x16x32_fp8_fp8 v[88:91], a[54:55], v[198:199], v[88:91]// 000000003A7C: D3F30058 0D638D36
	ds_read_b128 v[232:235], v2 offset:9472                    // 000000003A84: D9FE2500 E8000002
	ds_read_b32 v21, v3 offset:18176                           // 000000003A8C: D86C4700 15000003
	v_mfma_f32_16x16x32_fp8_fp8 v[92:95], a[48:49], v[208:209], 0// 000000003A94: D3F3005C 0A03A130
	v_mfma_f32_16x16x32_fp8_fp8 v[92:95], a[50:51], v[210:211], v[92:95]// 000000003A9C: D3F3005C 0D73A532
	buffer_load_dwordx4 a[20:23], v41, s[24:27], 0 offen offset:1024// 000000003AA4: E05C1400 80861429
	v_mfma_f32_16x16x32_fp8_fp8 v[92:95], a[52:53], v[212:213], v[92:95]// 000000003AAC: D3F3005C 0D73A934
	v_mfma_f32_16x16x32_fp8_fp8 v[92:95], a[54:55], v[214:215], v[92:95]// 000000003AB4: D3F3005C 0D73AD36
	ds_read_b128 v[236:239], v2 offset:9536                    // 000000003ABC: D9FE2540 EC000002
	ds_read_b32 v22, v3 offset:18432                           // 000000003AC4: D86C4800 16000003
	v_mul_f32_dpp v50, v24, v15 row_newbcast:0 row_mask:0xf bank_mask:0xf// 000000003ACC: 0A641EFA FF015018
	v_mov_b32_e32 v51, v50                                     // 000000003AD4: 7E660332
	v_pk_fma_f32 v[64:65], v[80:81], v[50:51], v[64:65]        // 000000003AD8: D3B04040 1D026550
	v_pk_fma_f32 v[66:67], v[82:83], v[50:51], v[66:67]        // 000000003AE0: D3B04042 1D0A6552
	v_pk_fma_f32 v[72:73], v[88:89], v[50:51], v[72:73]        // 000000003AE8: D3B04048 1D226558
	v_pk_fma_f32 v[74:75], v[90:91], v[50:51], v[74:75]        // 000000003AF0: D3B0404A 1D2A655A
	v_mul_f32_dpp v50, v24, v16 row_newbcast:0 row_mask:0xf bank_mask:0xf// 000000003AF8: 0A6420FA FF015018
	v_mov_b32_e32 v51, v50                                     // 000000003B00: 7E660332
	v_pk_fma_f32 v[68:69], v[84:85], v[50:51], v[68:69]        // 000000003B04: D3B04044 1D126554
	v_pk_fma_f32 v[70:71], v[86:87], v[50:51], v[70:71]        // 000000003B0C: D3B04046 1D1A6556
	v_pk_fma_f32 v[76:77], v[92:93], v[50:51], v[76:77]        // 000000003B14: D3B0404C 1D32655C
	v_pk_fma_f32 v[78:79], v[94:95], v[50:51], v[78:79]        // 000000003B1C: D3B0404E 1D3A655E
	v_mfma_f32_16x16x32_fp8_fp8 v[80:83], a[40:41], v[200:201], 0// 000000003B24: D3F30050 0A039128
	v_mfma_f32_16x16x32_fp8_fp8 v[80:83], a[42:43], v[202:203], v[80:83]// 000000003B2C: D3F30050 0D43952A
	buffer_load_dwordx4 a[8:11], v40, s[24:27], 0 offen offset:2048// 000000003B34: E05C1800 80860828
	v_mfma_f32_16x16x32_fp8_fp8 v[80:83], a[44:45], v[204:205], v[80:83]// 000000003B3C: D3F30050 0D43992C
	v_mfma_f32_16x16x32_fp8_fp8 v[80:83], a[46:47], v[206:207], v[80:83]// 000000003B44: D3F30050 0D439D2E
	ds_read_b128 v[240:243], v2 offset:10368                   // 000000003B4C: D9FE2880 F0000002
	v_mfma_f32_16x16x32_fp8_fp8 v[84:87], a[40:41], v[216:217], 0// 000000003B54: D3F30054 0A03B128
	v_mfma_f32_16x16x32_fp8_fp8 v[84:87], a[42:43], v[218:219], v[84:87]// 000000003B5C: D3F30054 0D53B52A
	buffer_load_dwordx4 a[12:15], v40, s[24:27], 0 offen offset:3072// 000000003B64: E05C1C00 80860C28
	v_mfma_f32_16x16x32_fp8_fp8 v[84:87], a[44:45], v[220:221], v[84:87]// 000000003B6C: D3F30054 0D53B92C
	v_mfma_f32_16x16x32_fp8_fp8 v[84:87], a[46:47], v[222:223], v[84:87]// 000000003B74: D3F30054 0D53BD2E
	ds_read_b128 v[244:247], v2 offset:10432                   // 000000003B7C: D9FE28C0 F4000002
	v_mfma_f32_16x16x32_fp8_fp8 v[88:91], a[56:57], v[200:201], 0// 000000003B84: D3F30058 0A039138
	v_mfma_f32_16x16x32_fp8_fp8 v[88:91], a[58:59], v[202:203], v[88:91]// 000000003B8C: D3F30058 0D63953A
	buffer_load_dwordx4 a[24:27], v41, s[24:27], 0 offen offset:2048// 000000003B94: E05C1800 80861829
	v_mfma_f32_16x16x32_fp8_fp8 v[88:91], a[60:61], v[204:205], v[88:91]// 000000003B9C: D3F30058 0D63993C
	v_mfma_f32_16x16x32_fp8_fp8 v[88:91], a[62:63], v[206:207], v[88:91]// 000000003BA4: D3F30058 0D639D3E
	ds_read_b128 v[248:251], v2 offset:10496                   // 000000003BAC: D9FE2900 F8000002
	v_mfma_f32_16x16x32_fp8_fp8 v[92:95], a[56:57], v[216:217], 0// 000000003BB4: D3F3005C 0A03B138
	v_mfma_f32_16x16x32_fp8_fp8 v[92:95], a[58:59], v[218:219], v[92:95]// 000000003BBC: D3F3005C 0D73B53A
	buffer_load_dwordx4 a[28:31], v41, s[24:27], 0 offen offset:3072// 000000003BC4: E05C1C00 80861C29
	v_mfma_f32_16x16x32_fp8_fp8 v[92:95], a[60:61], v[220:221], v[92:95]// 000000003BCC: D3F3005C 0D73B93C
	v_mfma_f32_16x16x32_fp8_fp8 v[92:95], a[62:63], v[222:223], v[92:95]// 000000003BD4: D3F3005C 0D73BD3E
	ds_read_b128 v[252:255], v2 offset:10560                   // 000000003BDC: D9FE2940 FC000002
	v_mul_f32_dpp v50, v24, v17 row_newbcast:2 row_mask:0xf bank_mask:0xf// 000000003BE4: 0A6422FA FF015218
	v_mov_b32_e32 v51, v50                                     // 000000003BEC: 7E660332
	v_pk_fma_f32 v[64:65], v[80:81], v[50:51], v[64:65]        // 000000003BF0: D3B04040 1D026550
	v_pk_fma_f32 v[66:67], v[82:83], v[50:51], v[66:67]        // 000000003BF8: D3B04042 1D0A6552
	v_pk_fma_f32 v[72:73], v[88:89], v[50:51], v[72:73]        // 000000003C00: D3B04048 1D226558
	v_pk_fma_f32 v[74:75], v[90:91], v[50:51], v[74:75]        // 000000003C08: D3B0404A 1D2A655A
	v_mul_f32_dpp v50, v24, v18 row_newbcast:2 row_mask:0xf bank_mask:0xf// 000000003C10: 0A6424FA FF015218
	v_mov_b32_e32 v51, v50                                     // 000000003C18: 7E660332
	v_pk_fma_f32 v[68:69], v[84:85], v[50:51], v[68:69]        // 000000003C1C: D3B04044 1D126554
	v_pk_fma_f32 v[70:71], v[86:87], v[50:51], v[70:71]        // 000000003C24: D3B04046 1D1A6556
	v_pk_fma_f32 v[76:77], v[92:93], v[50:51], v[76:77]        // 000000003C2C: D3B0404C 1D32655C
	v_pk_fma_f32 v[78:79], v[94:95], v[50:51], v[78:79]        // 000000003C34: D3B0404E 1D3A655E
	s_add_u32 s60, 0x200, s80                                  // 000000003C3C: 803C50FF 00000200
	s_cmp_lt_u32 s60, s81                                      // 000000003C44: BF0A513C
	s_cselect_b32 s57, s57, 0                                  // 000000003C48: 85398039
	s_cselect_b32 s3, s3, 0                                    // 000000003C4C: 85038003
	s_add_u32 s60, 0x200, s80                                  // 000000003C50: 803C50FF 00000200
	s_cmp_lt_u32 s60, s81                                      // 000000003C58: BF0A513C
	s_cselect_b32 s58, s58, 0                                  // 000000003C5C: 853A803A
	s_add_u32 s20, s57, s20                                    // 000000003C60: 80141439
	s_addc_u32 s21, 0, s21                                     // 000000003C64: 82151580
	s_add_u32 s28, s3, s28                                     // 000000003C68: 801C1C03
	s_addc_u32 s29, 0, s29                                     // 000000003C6C: 821D1D80
	s_add_u32 s24, s58, s24                                    // 000000003C70: 8018183A
	s_addc_u32 s25, 0, s25                                     // 000000003C74: 82191980
	s_add_u32 s92, s90, s92                                    // 000000003C78: 805C5C5A
	s_addc_u32 s93, 0, s93                                     // 000000003C7C: 825D5D80
	s_addk_i32 s80, 0x100                                      // 000000003C80: B7500100
	s_cmp_lt_i32 s80, s81                                      // 000000003C84: BF045150
	s_cbranch_scc0 label_04F8                                  // 000000003C88: BF840155
	s_waitcnt vmcnt(0) lgkmcnt(0)                              // 000000003C8C: BF8C0070
	s_barrier                                                  // 000000003C90: BF8A0000
	v_mfma_f32_16x16x32_fp8_fp8 v[144:147], a[0:1], v[224:225], 0// 000000003C94: D3F30090 0A03C100
	v_mfma_f32_16x16x32_fp8_fp8 v[144:147], a[2:3], v[226:227], v[144:147]// 000000003C9C: D3F30090 0E43C502
	buffer_load_dwordx4 a[32:35], v40, s[92:95], 0 offen       // 000000003CA4: E05C1000 80972028
	buffer_load_dword v32, s[20:23], 0 offen lds               // 000000003CAC: E0511000 80050020
	s_add_u32 m0, 0x100, s50                                   // 000000003CB4: 807C32FF 00000100
	buffer_load_dword v33, s[20:23], 0 offen lds               // 000000003CBC: E0511000 80050021
	s_add_u32 m0, 0x200, s50                                   // 000000003CC4: 807C32FF 00000200
	v_mfma_f32_16x16x32_fp8_fp8 v[144:147], a[4:5], v[228:229], v[144:147]// 000000003CCC: D3F30090 0E43C904
	v_mfma_f32_16x16x32_fp8_fp8 v[144:147], a[6:7], v[230:231], v[144:147]// 000000003CD4: D3F30090 0E43CD06
	buffer_load_dword v34, s[20:23], 0 offen lds               // 000000003CDC: E0511000 80050022
	s_add_u32 m0, 0x300, s50                                   // 000000003CE4: 807C32FF 00000300
	buffer_load_dword v35, s[20:23], 0 offen lds               // 000000003CEC: E0511000 80050023
	s_add_u32 m0, 0x400, s50                                   // 000000003CF4: 807C32FF 00000400
	v_mfma_f32_16x16x32_fp8_fp8 v[148:151], a[0:1], v[240:241], 0// 000000003CFC: D3F30094 0A03E100
	v_mfma_f32_16x16x32_fp8_fp8 v[148:151], a[2:3], v[242:243], v[148:151]// 000000003D04: D3F30094 0E53E502
	buffer_load_dwordx4 a[36:39], v40, s[92:95], 0 offen offset:1024// 000000003D0C: E05C1400 80972428
	buffer_load_dword v36, s[20:23], 0 offen lds               // 000000003D14: E0511000 80050024
	s_add_u32 m0, 0x500, s50                                   // 000000003D1C: 807C32FF 00000500
	buffer_load_dword v37, s[20:23], 0 offen lds               // 000000003D24: E0511000 80050025
	s_add_u32 m0, 0x600, s50                                   // 000000003D2C: 807C32FF 00000600
	v_mfma_f32_16x16x32_fp8_fp8 v[148:151], a[4:5], v[244:245], v[148:151]// 000000003D34: D3F30094 0E53E904
	v_mfma_f32_16x16x32_fp8_fp8 v[148:151], a[6:7], v[246:247], v[148:151]// 000000003D3C: D3F30094 0E53ED06
	buffer_load_dword v38, s[20:23], 0 offen lds               // 000000003D44: E0511000 80050026
	s_add_u32 m0, 0x700, s50                                   // 000000003D4C: 807C32FF 00000700
	buffer_load_dword v39, s[20:23], 0 offen lds               // 000000003D54: E0511000 80050027
	s_add_u32 m0, s50, s76                                     // 000000003D5C: 807C4C32
	v_mfma_f32_16x16x32_fp8_fp8 v[152:155], a[16:17], v[224:225], 0// 000000003D60: D3F30098 0A03C110
	v_mfma_f32_16x16x32_fp8_fp8 v[152:155], a[18:19], v[226:227], v[152:155]// 000000003D68: D3F30098 0E63C512
	buffer_load_dwordx4 a[48:51], v41, s[92:95], 0 offen       // 000000003D70: E05C1000 80973029
	v_mfma_f32_16x16x32_fp8_fp8 v[152:155], a[20:21], v[228:229], v[152:155]// 000000003D78: D3F30098 0E63C914
	v_mfma_f32_16x16x32_fp8_fp8 v[152:155], a[22:23], v[230:231], v[152:155]// 000000003D80: D3F30098 0E63CD16
	v_mfma_f32_16x16x32_fp8_fp8 v[156:159], a[16:17], v[240:241], 0// 000000003D88: D3F3009C 0A03E110
	v_mfma_f32_16x16x32_fp8_fp8 v[156:159], a[18:19], v[242:243], v[156:159]// 000000003D90: D3F3009C 0E73E512
	buffer_load_dwordx4 a[52:55], v41, s[92:95], 0 offen offset:1024// 000000003D98: E05C1400 80973429
	v_mfma_f32_16x16x32_fp8_fp8 v[156:159], a[20:21], v[244:245], v[156:159]// 000000003DA0: D3F3009C 0E73E914
	v_mfma_f32_16x16x32_fp8_fp8 v[156:159], a[22:23], v[246:247], v[156:159]// 000000003DA8: D3F3009C 0E73ED16
	buffer_load_dword v7, s[28:31], 0 offen lds                // 000000003DB0: E0511000 80070007
	s_add_u32 m0, 0, s51                                       // 000000003DB8: 807C3380
	buffer_load_dword v24, v13, s[32:35], 0 offen              // 000000003DBC: E0501000 8008180D
	v_mul_f32_dpp v50, v23, v19 row_newbcast:0 row_mask:0xf bank_mask:0xf// 000000003DC4: 0A6426FA FF015017
	v_mov_b32_e32 v51, v50                                     // 000000003DCC: 7E660332
	v_pk_fma_f32 v[128:129], v[144:145], v[50:51], v[128:129]  // 000000003DD0: D3B04080 1E026590
	v_pk_fma_f32 v[130:131], v[146:147], v[50:51], v[130:131]  // 000000003DD8: D3B04082 1E0A6592
	v_pk_fma_f32 v[136:137], v[152:153], v[50:51], v[136:137]  // 000000003DE0: D3B04088 1E226598
	v_pk_fma_f32 v[138:139], v[154:155], v[50:51], v[138:139]  // 000000003DE8: D3B0408A 1E2A659A
	v_mul_f32_dpp v50, v23, v20 row_newbcast:0 row_mask:0xf bank_mask:0xf// 000000003DF0: 0A6428FA FF015017
	v_mov_b32_e32 v51, v50                                     // 000000003DF8: 7E660332
	v_pk_fma_f32 v[132:133], v[148:149], v[50:51], v[132:133]  // 000000003DFC: D3B04084 1E126594
	v_pk_fma_f32 v[134:135], v[150:151], v[50:51], v[134:135]  // 000000003E04: D3B04086 1E1A6596
	v_pk_fma_f32 v[140:141], v[156:157], v[50:51], v[140:141]  // 000000003E0C: D3B0408C 1E32659C
	v_pk_fma_f32 v[142:143], v[158:159], v[50:51], v[142:143]  // 000000003E14: D3B0408E 1E3A659E
	v_mfma_f32_16x16x32_fp8_fp8 v[144:147], a[8:9], v[232:233], 0// 000000003E1C: D3F30090 0A03D108
	v_mfma_f32_16x16x32_fp8_fp8 v[144:147], a[10:11], v[234:235], v[144:147]// 000000003E24: D3F30090 0E43D50A
	buffer_load_dwordx4 a[40:43], v40, s[92:95], 0 offen offset:2048// 000000003E2C: E05C1800 80972828
	v_mfma_f32_16x16x32_fp8_fp8 v[144:147], a[12:13], v[236:237], v[144:147]// 000000003E34: D3F30090 0E43D90C
	v_mfma_f32_16x16x32_fp8_fp8 v[144:147], a[14:15], v[238:239], v[144:147]// 000000003E3C: D3F30090 0E43DD0E
	v_mfma_f32_16x16x32_fp8_fp8 v[148:151], a[8:9], v[248:249], 0// 000000003E44: D3F30094 0A03F108
	v_mfma_f32_16x16x32_fp8_fp8 v[148:151], a[10:11], v[250:251], v[148:151]// 000000003E4C: D3F30094 0E53F50A
	buffer_load_dwordx4 a[44:47], v40, s[92:95], 0 offen offset:3072// 000000003E54: E05C1C00 80972C28
	v_mfma_f32_16x16x32_fp8_fp8 v[148:151], a[12:13], v[252:253], v[148:151]// 000000003E5C: D3F30094 0E53F90C
	v_mfma_f32_16x16x32_fp8_fp8 v[148:151], a[14:15], v[254:255], v[148:151]// 000000003E64: D3F30094 0E53FD0E
	v_mfma_f32_16x16x32_fp8_fp8 v[152:155], a[24:25], v[232:233], 0// 000000003E6C: D3F30098 0A03D118
	v_mfma_f32_16x16x32_fp8_fp8 v[152:155], a[26:27], v[234:235], v[152:155]// 000000003E74: D3F30098 0E63D51A
	buffer_load_dwordx4 a[56:59], v41, s[92:95], 0 offen offset:2048// 000000003E7C: E05C1800 80973829
	v_mfma_f32_16x16x32_fp8_fp8 v[152:155], a[28:29], v[236:237], v[152:155]// 000000003E84: D3F30098 0E63D91C
	v_mfma_f32_16x16x32_fp8_fp8 v[152:155], a[30:31], v[238:239], v[152:155]// 000000003E8C: D3F30098 0E63DD1E
	v_mfma_f32_16x16x32_fp8_fp8 v[156:159], a[24:25], v[248:249], 0// 000000003E94: D3F3009C 0A03F118
	v_mfma_f32_16x16x32_fp8_fp8 v[156:159], a[26:27], v[250:251], v[156:159]// 000000003E9C: D3F3009C 0E73F51A
	buffer_load_dwordx4 a[60:63], v41, s[92:95], 0 offen offset:3072// 000000003EA4: E05C1C00 80973C29
	v_mfma_f32_16x16x32_fp8_fp8 v[156:159], a[28:29], v[252:253], v[156:159]// 000000003EAC: D3F3009C 0E73F91C
	v_mfma_f32_16x16x32_fp8_fp8 v[156:159], a[30:31], v[254:255], v[156:159]// 000000003EB4: D3F3009C 0E73FD1E
	v_mul_f32_dpp v50, v23, v21 row_newbcast:2 row_mask:0xf bank_mask:0xf// 000000003EBC: 0A642AFA FF015217
	v_mov_b32_e32 v51, v50                                     // 000000003EC4: 7E660332
	v_pk_fma_f32 v[128:129], v[144:145], v[50:51], v[128:129]  // 000000003EC8: D3B04080 1E026590
	v_pk_fma_f32 v[130:131], v[146:147], v[50:51], v[130:131]  // 000000003ED0: D3B04082 1E0A6592
	v_pk_fma_f32 v[136:137], v[152:153], v[50:51], v[136:137]  // 000000003ED8: D3B04088 1E226598
	v_pk_fma_f32 v[138:139], v[154:155], v[50:51], v[138:139]  // 000000003EE0: D3B0408A 1E2A659A
	v_mul_f32_dpp v50, v23, v22 row_newbcast:2 row_mask:0xf bank_mask:0xf// 000000003EE8: 0A642CFA FF015217
	v_mov_b32_e32 v51, v50                                     // 000000003EF0: 7E660332
	v_pk_fma_f32 v[132:133], v[148:149], v[50:51], v[132:133]  // 000000003EF4: D3B04084 1E126594
	v_pk_fma_f32 v[134:135], v[150:151], v[50:51], v[134:135]  // 000000003EFC: D3B04086 1E1A6596
	v_pk_fma_f32 v[140:141], v[156:157], v[50:51], v[140:141]  // 000000003F04: D3B0408C 1E32659C
	v_pk_fma_f32 v[142:143], v[158:159], v[50:51], v[142:143]  // 000000003F0C: D3B0408E 1E3A659E
	s_add_u32 s60, 0x100, s80                                  // 000000003F14: 803C50FF 00000100
	s_cmp_lt_u32 s60, s81                                      // 000000003F1C: BF0A513C
	s_cselect_b32 s4, s4, 0                                    // 000000003F20: 85048004
	s_add_u32 s32, s4, s32                                     // 000000003F24: 80202004
	s_addc_u32 s33, 0, s33                                     // 000000003F28: 82212180
	s_waitcnt vmcnt(0)                                         // 000000003F2C: BF8C0F70
	s_barrier                                                  // 000000003F30: BF8A0000
	v_mfma_f32_16x16x32_fp8_fp8 v[80:83], a[32:33], v[224:225], 0// 000000003F34: D3F30050 0A03C120
	v_mfma_f32_16x16x32_fp8_fp8 v[80:83], a[34:35], v[226:227], v[80:83]// 000000003F3C: D3F30050 0D43C522
	buffer_load_dwordx4 a[0:3], v40, s[24:27], 0 offen         // 000000003F44: E05C1000 80860028
	v_mfma_f32_16x16x32_fp8_fp8 v[80:83], a[36:37], v[228:229], v[80:83]// 000000003F4C: D3F30050 0D43C924
	v_mfma_f32_16x16x32_fp8_fp8 v[80:83], a[38:39], v[230:231], v[80:83]// 000000003F54: D3F30050 0D43CD26
	buffer_load_dword v23, v11, s[32:35], 0 offen              // 000000003F5C: E0501000 8008170B
	ds_read_b128 v[192:195], v2                                // 000000003F64: D9FE0000 C0000002
	ds_read_b32 v15, v3 offset:8320                            // 000000003F6C: D86C2080 0F000003
	v_mfma_f32_16x16x32_fp8_fp8 v[84:87], a[32:33], v[240:241], 0// 000000003F74: D3F30054 0A03E120
	v_mfma_f32_16x16x32_fp8_fp8 v[84:87], a[34:35], v[242:243], v[84:87]// 000000003F7C: D3F30054 0D53E522
	buffer_load_dwordx4 a[4:7], v40, s[24:27], 0 offen offset:1024// 000000003F84: E05C1400 80860428
	v_mfma_f32_16x16x32_fp8_fp8 v[84:87], a[36:37], v[244:245], v[84:87]// 000000003F8C: D3F30054 0D53E924
	v_mfma_f32_16x16x32_fp8_fp8 v[84:87], a[38:39], v[246:247], v[84:87]// 000000003F94: D3F30054 0D53ED26
	ds_read_b128 v[196:199], v2 offset:64                      // 000000003F9C: D9FE0040 C4000002
	ds_read_b32 v16, v3 offset:8576                            // 000000003FA4: D86C2180 10000003
	v_mfma_f32_16x16x32_fp8_fp8 v[88:91], a[48:49], v[224:225], 0// 000000003FAC: D3F30058 0A03C130
	v_mfma_f32_16x16x32_fp8_fp8 v[88:91], a[50:51], v[226:227], v[88:91]// 000000003FB4: D3F30058 0D63C532
	buffer_load_dwordx4 a[16:19], v41, s[24:27], 0 offen       // 000000003FBC: E05C1000 80861029
	v_mfma_f32_16x16x32_fp8_fp8 v[88:91], a[52:53], v[228:229], v[88:91]// 000000003FC4: D3F30058 0D63C934
	v_mfma_f32_16x16x32_fp8_fp8 v[88:91], a[54:55], v[230:231], v[88:91]// 000000003FCC: D3F30058 0D63CD36
	ds_read_b128 v[200:203], v2 offset:128                     // 000000003FD4: D9FE0080 C8000002
	ds_read_b32 v17, v3 offset:8832                            // 000000003FDC: D86C2280 11000003
	v_mfma_f32_16x16x32_fp8_fp8 v[92:95], a[48:49], v[240:241], 0// 000000003FE4: D3F3005C 0A03E130
	v_mfma_f32_16x16x32_fp8_fp8 v[92:95], a[50:51], v[242:243], v[92:95]// 000000003FEC: D3F3005C 0D73E532
	buffer_load_dwordx4 a[20:23], v41, s[24:27], 0 offen offset:1024// 000000003FF4: E05C1400 80861429
	v_mfma_f32_16x16x32_fp8_fp8 v[92:95], a[52:53], v[244:245], v[92:95]// 000000003FFC: D3F3005C 0D73E934
	v_mfma_f32_16x16x32_fp8_fp8 v[92:95], a[54:55], v[246:247], v[92:95]// 000000004004: D3F3005C 0D73ED36
	ds_read_b128 v[204:207], v2 offset:192                     // 00000000400C: D9FE00C0 CC000002
	ds_read_b32 v18, v3 offset:9088                            // 000000004014: D86C2380 12000003
	v_mul_f32_dpp v50, v24, v19 row_newbcast:0 row_mask:0xf bank_mask:0xf// 00000000401C: 0A6426FA FF015018
	v_mov_b32_e32 v51, v50                                     // 000000004024: 7E660332
	v_pk_fma_f32 v[64:65], v[80:81], v[50:51], v[64:65]        // 000000004028: D3B04040 1D026550
	v_pk_fma_f32 v[66:67], v[82:83], v[50:51], v[66:67]        // 000000004030: D3B04042 1D0A6552
	v_pk_fma_f32 v[72:73], v[88:89], v[50:51], v[72:73]        // 000000004038: D3B04048 1D226558
	v_pk_fma_f32 v[74:75], v[90:91], v[50:51], v[74:75]        // 000000004040: D3B0404A 1D2A655A
	v_mul_f32_dpp v50, v24, v20 row_newbcast:0 row_mask:0xf bank_mask:0xf// 000000004048: 0A6428FA FF015018
	v_mov_b32_e32 v51, v50                                     // 000000004050: 7E660332
	v_pk_fma_f32 v[68:69], v[84:85], v[50:51], v[68:69]        // 000000004054: D3B04044 1D126554
	v_pk_fma_f32 v[70:71], v[86:87], v[50:51], v[70:71]        // 00000000405C: D3B04046 1D1A6556
	v_pk_fma_f32 v[76:77], v[92:93], v[50:51], v[76:77]        // 000000004064: D3B0404C 1D32655C
	v_pk_fma_f32 v[78:79], v[94:95], v[50:51], v[78:79]        // 00000000406C: D3B0404E 1D3A655E
	v_mfma_f32_16x16x32_fp8_fp8 v[80:83], a[40:41], v[232:233], 0// 000000004074: D3F30050 0A03D128
	v_mfma_f32_16x16x32_fp8_fp8 v[80:83], a[42:43], v[234:235], v[80:83]// 00000000407C: D3F30050 0D43D52A
	buffer_load_dwordx4 a[8:11], v40, s[24:27], 0 offen offset:2048// 000000004084: E05C1800 80860828
	v_mfma_f32_16x16x32_fp8_fp8 v[80:83], a[44:45], v[236:237], v[80:83]// 00000000408C: D3F30050 0D43D92C
	v_mfma_f32_16x16x32_fp8_fp8 v[80:83], a[46:47], v[238:239], v[80:83]// 000000004094: D3F30050 0D43DD2E
	ds_read_b128 v[208:211], v2 offset:1024                    // 00000000409C: D9FE0400 D0000002
	v_mfma_f32_16x16x32_fp8_fp8 v[84:87], a[40:41], v[248:249], 0// 0000000040A4: D3F30054 0A03F128
	v_mfma_f32_16x16x32_fp8_fp8 v[84:87], a[42:43], v[250:251], v[84:87]// 0000000040AC: D3F30054 0D53F52A
	buffer_load_dwordx4 a[12:15], v40, s[24:27], 0 offen offset:3072// 0000000040B4: E05C1C00 80860C28
	v_mfma_f32_16x16x32_fp8_fp8 v[84:87], a[44:45], v[252:253], v[84:87]// 0000000040BC: D3F30054 0D53F92C
	v_mfma_f32_16x16x32_fp8_fp8 v[84:87], a[46:47], v[254:255], v[84:87]// 0000000040C4: D3F30054 0D53FD2E
	ds_read_b128 v[212:215], v2 offset:1088                    // 0000000040CC: D9FE0440 D4000002
	v_mfma_f32_16x16x32_fp8_fp8 v[88:91], a[56:57], v[232:233], 0// 0000000040D4: D3F30058 0A03D138
	v_mfma_f32_16x16x32_fp8_fp8 v[88:91], a[58:59], v[234:235], v[88:91]// 0000000040DC: D3F30058 0D63D53A
	buffer_load_dwordx4 a[24:27], v41, s[24:27], 0 offen offset:2048// 0000000040E4: E05C1800 80861829
	v_mfma_f32_16x16x32_fp8_fp8 v[88:91], a[60:61], v[236:237], v[88:91]// 0000000040EC: D3F30058 0D63D93C
	v_mfma_f32_16x16x32_fp8_fp8 v[88:91], a[62:63], v[238:239], v[88:91]// 0000000040F4: D3F30058 0D63DD3E
	ds_read_b128 v[216:219], v2 offset:1152                    // 0000000040FC: D9FE0480 D8000002
	v_mfma_f32_16x16x32_fp8_fp8 v[92:95], a[56:57], v[248:249], 0// 000000004104: D3F3005C 0A03F138
	v_mfma_f32_16x16x32_fp8_fp8 v[92:95], a[58:59], v[250:251], v[92:95]// 00000000410C: D3F3005C 0D73F53A
	buffer_load_dwordx4 a[28:31], v41, s[24:27], 0 offen offset:3072// 000000004114: E05C1C00 80861C29
	v_mfma_f32_16x16x32_fp8_fp8 v[92:95], a[60:61], v[252:253], v[92:95]// 00000000411C: D3F3005C 0D73F93C
	v_mfma_f32_16x16x32_fp8_fp8 v[92:95], a[62:63], v[254:255], v[92:95]// 000000004124: D3F3005C 0D73FD3E
	ds_read_b128 v[220:223], v2 offset:1216                    // 00000000412C: D9FE04C0 DC000002
	v_mul_f32_dpp v50, v24, v21 row_newbcast:2 row_mask:0xf bank_mask:0xf// 000000004134: 0A642AFA FF015218
	v_mov_b32_e32 v51, v50                                     // 00000000413C: 7E660332
	v_pk_fma_f32 v[64:65], v[80:81], v[50:51], v[64:65]        // 000000004140: D3B04040 1D026550
	v_pk_fma_f32 v[66:67], v[82:83], v[50:51], v[66:67]        // 000000004148: D3B04042 1D0A6552
	v_pk_fma_f32 v[72:73], v[88:89], v[50:51], v[72:73]        // 000000004150: D3B04048 1D226558
	v_pk_fma_f32 v[74:75], v[90:91], v[50:51], v[74:75]        // 000000004158: D3B0404A 1D2A655A
	v_mul_f32_dpp v50, v24, v22 row_newbcast:2 row_mask:0xf bank_mask:0xf// 000000004160: 0A642CFA FF015218
	v_mov_b32_e32 v51, v50                                     // 000000004168: 7E660332
	v_pk_fma_f32 v[68:69], v[84:85], v[50:51], v[68:69]        // 00000000416C: D3B04044 1D126554
	v_pk_fma_f32 v[70:71], v[86:87], v[50:51], v[70:71]        // 000000004174: D3B04046 1D1A6556
	v_pk_fma_f32 v[76:77], v[92:93], v[50:51], v[76:77]        // 00000000417C: D3B0404C 1D32655C
	v_pk_fma_f32 v[78:79], v[94:95], v[50:51], v[78:79]        // 000000004184: D3B0404E 1D3A655E
	s_add_u32 s60, 0x200, s80                                  // 00000000418C: 803C50FF 00000200
	s_cmp_lt_u32 s60, s81                                      // 000000004194: BF0A513C
	s_cselect_b32 s57, s57, 0                                  // 000000004198: 85398039
	s_cselect_b32 s3, s3, 0                                    // 00000000419C: 85038003
	s_add_u32 s60, 0x200, s80                                  // 0000000041A0: 803C50FF 00000200
	s_cmp_lt_u32 s60, s81                                      // 0000000041A8: BF0A513C
	s_cselect_b32 s58, s58, 0                                  // 0000000041AC: 853A803A
	s_add_u32 s20, s57, s20                                    // 0000000041B0: 80141439
	s_addc_u32 s21, 0, s21                                     // 0000000041B4: 82151580
	s_add_u32 s28, s3, s28                                     // 0000000041B8: 801C1C03
	s_addc_u32 s29, 0, s29                                     // 0000000041BC: 821D1D80
	s_add_u32 s24, s58, s24                                    // 0000000041C0: 8018183A
	s_addc_u32 s25, 0, s25                                     // 0000000041C4: 82191980
	s_add_u32 s92, s90, s92                                    // 0000000041C8: 805C5C5A
	s_addc_u32 s93, 0, s93                                     // 0000000041CC: 825D5D80
	s_addk_i32 s80, 0x100                                      // 0000000041D0: B7500100
	s_cmp_lt_i32 s80, s81                                      // 0000000041D4: BF045150
	s_cbranch_scc0 label_04F8                                  // 0000000041D8: BF840001
	s_branch label_024F                                        // 0000000041DC: BF82FD57

00000000000041e0 <label_04F8>:
	s_mov_b32 s36, -1                                          // 0000000041E0: BEA400C1
	s_mov_b32 s37, -1                                          // 0000000041E4: BEA500C1
	s_mov_b64 s[60:61], 0                                      // 0000000041E8: BEBC0180
	s_cmp_lt_u32 s82, s66                                      // 0000000041EC: BF0A4252
	s_cselect_b64 s[20:21], s[36:37], s[60:61]                 // 0000000041F0: 85943C24
	s_cmp_lt_u32 s83, s66                                      // 0000000041F4: BF0A4253
	s_cselect_b64 s[22:23], s[36:37], s[60:61]                 // 0000000041F8: 85963C24
	s_cmp_lt_u32 s84, s66                                      // 0000000041FC: BF0A4254
	s_cselect_b64 s[24:25], s[36:37], s[60:61]                 // 000000004200: 85983C24
	s_cmp_lt_u32 s85, s66                                      // 000000004204: BF0A4255
	s_cselect_b64 s[26:27], s[36:37], s[60:61]                 // 000000004208: 859A3C24
	s_cmp_lt_u32 s86, s66                                      // 00000000420C: BF0A4256
	s_cselect_b64 s[28:29], s[36:37], s[60:61]                 // 000000004210: 859C3C24
	s_cmp_lt_u32 s87, s66                                      // 000000004214: BF0A4257
	s_cselect_b64 s[30:31], s[36:37], s[60:61]                 // 000000004218: 859E3C24
	s_cmp_lt_u32 s88, s66                                      // 00000000421C: BF0A4258
	s_cselect_b64 s[32:33], s[36:37], s[60:61]                 // 000000004220: 85A03C24
	s_cmp_lt_u32 s89, s66                                      // 000000004224: BF0A4259
	s_cselect_b64 s[34:35], s[36:37], s[60:61]                 // 000000004228: 85A23C24
	s_waitcnt vmcnt(4)                                         // 00000000422C: BF8C0F74
	buffer_load_dwordx4 a[0:3], v42, s[12:15], 0 offen         // 000000004230: E05C1000 8083002A
	v_mul_f32_e64 v50, -v128, s6                               // 000000004238: D1050032 20000D80
	v_mul_f32_e64 v51, -v129, s6                               // 000000004240: D1050033 20000D81
	v_mul_f32_e64 v52, -v130, s6                               // 000000004248: D1050034 20000D82
	v_mul_f32_e64 v53, -v131, s6                               // 000000004250: D1050035 20000D83
	v_exp_f32_e32 v50, v50                                     // 000000004258: 7E644132
	v_exp_f32_e32 v51, v51                                     // 00000000425C: 7E664133
	v_exp_f32_e32 v52, v52                                     // 000000004260: 7E684134
	v_exp_f32_e32 v53, v53                                     // 000000004264: 7E6A4135
	buffer_load_dwordx4 a[4:7], v43, s[12:15], 0 offen         // 000000004268: E05C1000 8083042B
	v_add_f32_e64 v50, v50, 1.0                                // 000000004270: D1010032 0001E532
	v_add_f32_e64 v51, v51, 1.0                                // 000000004278: D1010033 0001E533
	v_add_f32_e64 v52, v52, 1.0                                // 000000004280: D1010034 0001E534
	v_add_f32_e64 v53, v53, 1.0                                // 000000004288: D1010035 0001E535
	v_rcp_f32_e32 v50, v50                                     // 000000004290: 7E644532
	v_rcp_f32_e32 v51, v51                                     // 000000004294: 7E664533
	v_rcp_f32_e32 v52, v52                                     // 000000004298: 7E684534
	v_rcp_f32_e32 v53, v53                                     // 00000000429C: 7E6A4535
	v_mul_f32_e32 v128, v128, v50                              // 0000000042A0: 0B006580
	v_mul_f32_e32 v129, v129, v51                              // 0000000042A4: 0B026781
	v_mul_f32_e32 v130, v130, v52                              // 0000000042A8: 0B046982
	v_mul_f32_e32 v131, v131, v53                              // 0000000042AC: 0B066B83
	v_mul_f32_e32 v128, v128, v64                              // 0000000042B0: 0B008180
	v_mul_f32_e32 v129, v129, v65                              // 0000000042B4: 0B028381
	v_mul_f32_e32 v130, v130, v66                              // 0000000042B8: 0B048582
	v_mul_f32_e32 v131, v131, v67                              // 0000000042BC: 0B068783
	buffer_load_dwordx4 a[8:11], v44, s[12:15], 0 offen        // 0000000042C0: E05C1000 8083082C
	v_mul_f32_e64 v50, -v132, s6                               // 0000000042C8: D1050032 20000D84
	v_mul_f32_e64 v51, -v133, s6                               // 0000000042D0: D1050033 20000D85
	v_mul_f32_e64 v52, -v134, s6                               // 0000000042D8: D1050034 20000D86
	v_mul_f32_e64 v53, -v135, s6                               // 0000000042E0: D1050035 20000D87
	v_exp_f32_e32 v50, v50                                     // 0000000042E8: 7E644132
	v_exp_f32_e32 v51, v51                                     // 0000000042EC: 7E664133
	v_exp_f32_e32 v52, v52                                     // 0000000042F0: 7E684134
	v_exp_f32_e32 v53, v53                                     // 0000000042F4: 7E6A4135
	buffer_load_dwordx4 a[12:15], v45, s[12:15], 0 offen       // 0000000042F8: E05C1000 80830C2D
	s_add_u32 s12, s78, s12                                    // 000000004300: 800C0C4E
	s_addc_u32 s13, 0, s13                                     // 000000004304: 820D0D80
	v_add_f32_e64 v50, v50, 1.0                                // 000000004308: D1010032 0001E532
	v_add_f32_e64 v51, v51, 1.0                                // 000000004310: D1010033 0001E533
	v_add_f32_e64 v52, v52, 1.0                                // 000000004318: D1010034 0001E534
	v_add_f32_e64 v53, v53, 1.0                                // 000000004320: D1010035 0001E535
	v_rcp_f32_e32 v50, v50                                     // 000000004328: 7E644532
	v_rcp_f32_e32 v51, v51                                     // 00000000432C: 7E664533
	v_rcp_f32_e32 v52, v52                                     // 000000004330: 7E684534
	v_rcp_f32_e32 v53, v53                                     // 000000004334: 7E6A4535
	v_mul_f32_e32 v132, v132, v50                              // 000000004338: 0B086584
	v_mul_f32_e32 v133, v133, v51                              // 00000000433C: 0B0A6785
	v_mul_f32_e32 v134, v134, v52                              // 000000004340: 0B0C6986
	v_mul_f32_e32 v135, v135, v53                              // 000000004344: 0B0E6B87
	v_mul_f32_e32 v132, v132, v68                              // 000000004348: 0B088984
	v_mul_f32_e32 v133, v133, v69                              // 00000000434C: 0B0A8B85
	v_mul_f32_e32 v134, v134, v70                              // 000000004350: 0B0C8D86
	v_mul_f32_e32 v135, v135, v71                              // 000000004354: 0B0E8F87
	s_waitcnt vmcnt(4)                                         // 000000004358: BF8C0F74
	buffer_load_dwordx4 a[16:19], v42, s[12:15], 0 offen       // 00000000435C: E05C1000 8083102A
	v_mul_f32_e64 v50, -v136, s6                               // 000000004364: D1050032 20000D88
	v_mul_f32_e64 v51, -v137, s6                               // 00000000436C: D1050033 20000D89
	v_mul_f32_e64 v52, -v138, s6                               // 000000004374: D1050034 20000D8A
	v_mul_f32_e64 v53, -v139, s6                               // 00000000437C: D1050035 20000D8B
	v_exp_f32_e32 v50, v50                                     // 000000004384: 7E644132
	v_exp_f32_e32 v51, v51                                     // 000000004388: 7E664133
	v_exp_f32_e32 v52, v52                                     // 00000000438C: 7E684134
	v_exp_f32_e32 v53, v53                                     // 000000004390: 7E6A4135
	buffer_load_dwordx4 a[20:23], v43, s[12:15], 0 offen       // 000000004394: E05C1000 8083142B
	v_add_f32_e64 v50, v50, 1.0                                // 00000000439C: D1010032 0001E532
	v_add_f32_e64 v51, v51, 1.0                                // 0000000043A4: D1010033 0001E533
	v_add_f32_e64 v52, v52, 1.0                                // 0000000043AC: D1010034 0001E534
	v_add_f32_e64 v53, v53, 1.0                                // 0000000043B4: D1010035 0001E535
	v_rcp_f32_e32 v50, v50                                     // 0000000043BC: 7E644532
	v_rcp_f32_e32 v51, v51                                     // 0000000043C0: 7E664533
	v_rcp_f32_e32 v52, v52                                     // 0000000043C4: 7E684534
	v_rcp_f32_e32 v53, v53                                     // 0000000043C8: 7E6A4535
	v_mul_f32_e32 v136, v136, v50                              // 0000000043CC: 0B106588
	v_mul_f32_e32 v137, v137, v51                              // 0000000043D0: 0B126789
	v_mul_f32_e32 v138, v138, v52                              // 0000000043D4: 0B14698A
	v_mul_f32_e32 v139, v139, v53                              // 0000000043D8: 0B166B8B
	v_mul_f32_e32 v136, v136, v72                              // 0000000043DC: 0B109188
	v_mul_f32_e32 v137, v137, v73                              // 0000000043E0: 0B129389
	v_mul_f32_e32 v138, v138, v74                              // 0000000043E4: 0B14958A
	v_mul_f32_e32 v139, v139, v75                              // 0000000043E8: 0B16978B
	buffer_load_dwordx4 a[24:27], v44, s[12:15], 0 offen       // 0000000043EC: E05C1000 8083182C
	v_mul_f32_e64 v50, -v140, s6                               // 0000000043F4: D1050032 20000D8C
	v_mul_f32_e64 v51, -v141, s6                               // 0000000043FC: D1050033 20000D8D
	v_mul_f32_e64 v52, -v142, s6                               // 000000004404: D1050034 20000D8E
	v_mul_f32_e64 v53, -v143, s6                               // 00000000440C: D1050035 20000D8F
	v_exp_f32_e32 v50, v50                                     // 000000004414: 7E644132
	v_exp_f32_e32 v51, v51                                     // 000000004418: 7E664133
	v_exp_f32_e32 v52, v52                                     // 00000000441C: 7E684134
	v_exp_f32_e32 v53, v53                                     // 000000004420: 7E6A4135
	buffer_load_dwordx4 a[28:31], v45, s[12:15], 0 offen       // 000000004424: E05C1000 80831C2D
	v_add_f32_e64 v50, v50, 1.0                                // 00000000442C: D1010032 0001E532
	v_add_f32_e64 v51, v51, 1.0                                // 000000004434: D1010033 0001E533
	v_add_f32_e64 v52, v52, 1.0                                // 00000000443C: D1010034 0001E534
	v_add_f32_e64 v53, v53, 1.0                                // 000000004444: D1010035 0001E535
	v_rcp_f32_e32 v50, v50                                     // 00000000444C: 7E644532
	v_rcp_f32_e32 v51, v51                                     // 000000004450: 7E664533
	v_rcp_f32_e32 v52, v52                                     // 000000004454: 7E684534
	v_rcp_f32_e32 v53, v53                                     // 000000004458: 7E6A4535
	v_mul_f32_e32 v140, v140, v50                              // 00000000445C: 0B18658C
	v_mul_f32_e32 v141, v141, v51                              // 000000004460: 0B1A678D
	v_mul_f32_e32 v142, v142, v52                              // 000000004464: 0B1C698E
	v_mul_f32_e32 v143, v143, v53                              // 000000004468: 0B1E6B8F
	v_mul_f32_e32 v140, v140, v76                              // 00000000446C: 0B18998C
	v_mul_f32_e32 v141, v141, v77                              // 000000004470: 0B1A9B8D
	v_mul_f32_e32 v142, v142, v78                              // 000000004474: 0B1C9D8E
	v_mul_f32_e32 v143, v143, v79                              // 000000004478: 0B1E9F8F
	v_lshlrev_b32_e32 v50, 2, v0                               // 00000000447C: 24640082
	s_mul_i32 s60, s82, s71                                    // 000000004480: 923C4752
	v_add_u32_e64 v80, v50, s60                                // 000000004484: D1340050 00007932
	v_mov_b32_e32 v81, 0                                       // 00000000448C: 7EA20280
	s_mul_i32 s60, s83, s71                                    // 000000004490: 923C4753
	v_add_u32_e64 v82, v50, s60                                // 000000004494: D1340052 00007932
	v_mov_b32_e32 v83, 0                                       // 00000000449C: 7EA60280
	s_mul_i32 s60, s84, s71                                    // 0000000044A0: 923C4754
	v_add_u32_e64 v84, v50, s60                                // 0000000044A4: D1340054 00007932
	v_mov_b32_e32 v85, 0                                       // 0000000044AC: 7EAA0280
	s_mul_i32 s60, s85, s71                                    // 0000000044B0: 923C4755
	v_add_u32_e64 v86, v50, s60                                // 0000000044B4: D1340056 00007932
	v_mov_b32_e32 v87, 0                                       // 0000000044BC: 7EAE0280
	s_mul_i32 s60, s86, s71                                    // 0000000044C0: 923C4756
	v_add_u32_e64 v88, v50, s60                                // 0000000044C4: D1340058 00007932
	v_mov_b32_e32 v89, 0                                       // 0000000044CC: 7EB20280
	s_mul_i32 s60, s87, s71                                    // 0000000044D0: 923C4757
	v_add_u32_e64 v90, v50, s60                                // 0000000044D4: D134005A 00007932
	v_mov_b32_e32 v91, 0                                       // 0000000044DC: 7EB60280
	s_mul_i32 s60, s88, s71                                    // 0000000044E0: 923C4758
	v_add_u32_e64 v92, v50, s60                                // 0000000044E4: D134005C 00007932
	v_mov_b32_e32 v93, 0                                       // 0000000044EC: 7EBA0280
	s_mul_i32 s60, s89, s71                                    // 0000000044F0: 923C4759
	v_add_u32_e64 v94, v50, s60                                // 0000000044F4: D134005E 00007932
	v_mov_b32_e32 v95, 0                                       // 0000000044FC: 7EBE0280
	buffer_load_dword v23, v6, s[16:19], 0 offen               // 000000004500: E0501000 80041706
	v_mov_b32_e32 v28, 0x358637bd                              // 000000004508: 7E3802FF 358637BD
	v_mov_b32_e32 v29, 0x358637bd                              // 000000004510: 7E3A02FF 358637BD
	v_max3_f32 v28, |v128|, |v129|, v28                        // 000000004518: D1D3031C 04730380
	v_max3_f32 v28, |v130|, |v131|, v28                        // 000000004520: D1D3031C 04730782
	v_max3_f32 v29, |v132|, |v133|, v29                        // 000000004528: D1D3031D 04770B84
	v_max3_f32 v29, |v134|, |v135|, v29                        // 000000004530: D1D3031D 04770F86
	v_max3_f32 v28, |v136|, |v137|, v28                        // 000000004538: D1D3031C 04731388
	v_max3_f32 v28, |v138|, |v139|, v28                        // 000000004540: D1D3031C 0473178A
	v_max3_f32 v29, |v140|, |v141|, v29                        // 000000004548: D1D3031D 04771B8C
	v_max3_f32 v29, |v142|, |v143|, v29                        // 000000004550: D1D3031D 04771F8E
	v_lshlrev_b32_e32 v50, 3, v0                               // 000000004558: 24640083
	s_mul_i32 s60, 0x200, s7                                   // 00000000455C: 923C07FF 00000200
	v_add_u32_e32 v50, s60, v50                                // 000000004564: 6864643C
	ds_write_b64 v50, v[28:29] offset:18688                    // 000000004568: D89A4900 00001C32
	s_waitcnt lgkmcnt(0)                                       // 000000004570: BF8CC07F
	s_barrier                                                  // 000000004574: BF8A0000
	v_and_b32_e32 v50, 15, v0                                  // 000000004578: 2664008F
	v_lshlrev_b32_e32 v50, 3, v50                              // 00000000457C: 24646483
	ds_read_b64 v[96:97], v50 offset:18688                     // 000000004580: D8EC4900 60000032
	ds_read_b64 v[98:99], v50 offset:18816                     // 000000004588: D8EC4980 62000032
	ds_read_b64 v[100:101], v50 offset:18944                   // 000000004590: D8EC4A00 64000032
	ds_read_b64 v[102:103], v50 offset:19072                   // 000000004598: D8EC4A80 66000032
	ds_read_b64 v[104:105], v50 offset:19200                   // 0000000045A0: D8EC4B00 68000032
	ds_read_b64 v[106:107], v50 offset:19328                   // 0000000045A8: D8EC4B80 6A000032
	ds_read_b64 v[108:109], v50 offset:19456                   // 0000000045B0: D8EC4C00 6C000032
	ds_read_b64 v[110:111], v50 offset:19584                   // 0000000045B8: D8EC4C80 6E000032
	ds_read_b64 v[112:113], v50 offset:19712                   // 0000000045C0: D8EC4D00 70000032
	ds_read_b64 v[114:115], v50 offset:19840                   // 0000000045C8: D8EC4D80 72000032
	ds_read_b64 v[116:117], v50 offset:19968                   // 0000000045D0: D8EC4E00 74000032
	ds_read_b64 v[118:119], v50 offset:20096                   // 0000000045D8: D8EC4E80 76000032
	ds_read_b64 v[120:121], v50 offset:20224                   // 0000000045E0: D8EC4F00 78000032
	ds_read_b64 v[122:123], v50 offset:20352                   // 0000000045E8: D8EC4F80 7A000032
	ds_read_b64 v[124:125], v50 offset:20480                   // 0000000045F0: D8EC5000 7C000032
	ds_read_b64 v[126:127], v50 offset:20608                   // 0000000045F8: D8EC5080 7E000032
	s_waitcnt lgkmcnt(0)                                       // 000000004600: BF8CC07F
	v_max3_f32 v28, |v96|, |v98|, v28                          // 000000004604: D1D3031C 0472C560
	v_max3_f32 v29, |v97|, |v99|, v29                          // 00000000460C: D1D3031D 0476C761
	v_max3_f32 v28, |v100|, |v102|, v28                        // 000000004614: D1D3031C 0472CD64
	v_max3_f32 v29, |v101|, |v103|, v29                        // 00000000461C: D1D3031D 0476CF65
	v_max3_f32 v28, |v104|, |v106|, v28                        // 000000004624: D1D3031C 0472D568
	v_max3_f32 v29, |v105|, |v107|, v29                        // 00000000462C: D1D3031D 0476D769
	v_max3_f32 v28, |v108|, |v110|, v28                        // 000000004634: D1D3031C 0472DD6C
	v_max3_f32 v29, |v109|, |v111|, v29                        // 00000000463C: D1D3031D 0476DF6D
	v_max3_f32 v28, |v112|, |v114|, v28                        // 000000004644: D1D3031C 0472E570
	v_max3_f32 v29, |v113|, |v115|, v29                        // 00000000464C: D1D3031D 0476E771
	v_max3_f32 v28, |v116|, |v118|, v28                        // 000000004654: D1D3031C 0472ED74
	v_max3_f32 v29, |v117|, |v119|, v29                        // 00000000465C: D1D3031D 0476EF75
	v_max3_f32 v28, |v120|, |v122|, v28                        // 000000004664: D1D3031C 0472F578
	v_max3_f32 v29, |v121|, |v123|, v29                        // 00000000466C: D1D3031D 0476F779
	v_max3_f32 v28, |v124|, |v126|, v28                        // 000000004674: D1D3031C 0472FD7C
	v_max3_f32 v29, |v125|, |v127|, v29                        // 00000000467C: D1D3031D 0476FF7D
	v_rcp_f32_e32 v28, v28                                     // 000000004684: 7E38451C
	v_rcp_f32_e32 v29, v29                                     // 000000004688: 7E3A451D
	v_mov_b32_e32 v50, 0x43700000                              // 00000000468C: 7E6402FF 43700000
	v_mul_f32_e32 v28, v50, v28                                // 000000004694: 0A383932
	v_mul_f32_e32 v29, v50, v29                                // 000000004698: 0A3A3B32
	v_mul_f32_e32 v128, v28, v128                              // 00000000469C: 0B01011C
	v_mul_f32_e32 v129, v28, v129                              // 0000000046A0: 0B03031C
	v_mul_f32_e32 v130, v28, v130                              // 0000000046A4: 0B05051C
	v_mul_f32_e32 v131, v28, v131                              // 0000000046A8: 0B07071C
	v_cvt_pk_fp8_f32 v128, v128, v129                          // 0000000046AC: D2A20080 00030380
	v_cvt_pk_fp8_f32 v128, v130, v131 op_sel:[0,0,1]           // 0000000046B4: D2A24080 00030782
	v_mul_f32_e32 v132, v29, v132                              // 0000000046BC: 0B09091D
	v_mul_f32_e32 v133, v29, v133                              // 0000000046C0: 0B0B0B1D
	v_mul_f32_e32 v134, v29, v134                              // 0000000046C4: 0B0D0D1D
	v_mul_f32_e32 v135, v29, v135                              // 0000000046C8: 0B0F0F1D
	v_cvt_pk_fp8_f32 v129, v132, v133                          // 0000000046CC: D2A20081 00030B84
	v_cvt_pk_fp8_f32 v129, v134, v135 op_sel:[0,0,1]           // 0000000046D4: D2A24081 00030F86
	v_mul_f32_e32 v136, v28, v136                              // 0000000046DC: 0B11111C
	v_mul_f32_e32 v137, v28, v137                              // 0000000046E0: 0B13131C
	v_mul_f32_e32 v138, v28, v138                              // 0000000046E4: 0B15151C
	v_mul_f32_e32 v139, v28, v139                              // 0000000046E8: 0B17171C
	v_cvt_pk_fp8_f32 v130, v136, v137                          // 0000000046EC: D2A20082 00031388
	v_cvt_pk_fp8_f32 v130, v138, v139 op_sel:[0,0,1]           // 0000000046F4: D2A24082 0003178A
	v_mul_f32_e32 v140, v29, v140                              // 0000000046FC: 0B19191D
	v_mul_f32_e32 v141, v29, v141                              // 000000004700: 0B1B1B1D
	v_mul_f32_e32 v142, v29, v142                              // 000000004704: 0B1D1D1D
	v_mul_f32_e32 v143, v29, v143                              // 000000004708: 0B1F1F1D
	v_cvt_pk_fp8_f32 v131, v140, v141                          // 00000000470C: D2A20083 00031B8C
	v_cvt_pk_fp8_f32 v131, v142, v143 op_sel:[0,0,1]           // 000000004714: D2A24083 00031F8E
	v_rcp_f32_e32 v30, v28                                     // 00000000471C: 7E3C451C
	v_rcp_f32_e32 v31, v29                                     // 000000004720: 7E3E451D
	v_lshrrev_b32_e32 v50, 5, v0                               // 000000004724: 20640085
	v_lshlrev_b32_e32 v51, 5, v50                              // 000000004728: 24666485
	v_and_b32_e32 v50, 31, v0                                  // 00000000472C: 2664009F
	v_lshrrev_b32_e32 v52, 4, v50                              // 000000004730: 20686484
	v_add_u32_e32 v51, v52, v51                                // 000000004734: 68666734
	v_and_b32_e32 v50, 15, v0                                  // 000000004738: 2664008F
	v_lshlrev_b32_e32 v50, 1, v50                              // 00000000473C: 24646481
	v_add_u32_e32 v51, v50, v51                                // 000000004740: 68666732
	v_lshlrev_b32_e32 v50, 2, v51                              // 000000004744: 24646682
	s_mul_i32 s60, 0x100, s7                                   // 000000004748: 923C07FF 00000100
	v_add_u32_e64 v50, v50, s60                                // 000000004750: D1340032 00007932
	ds_write_b32 v50, v128 offset:20736                        // 000000004758: D81A5100 00008032
	ds_write_b32 v50, v129 offset:22784                        // 000000004760: D81A5900 00008132
	ds_write_b32 v50, v130 offset:21760                        // 000000004768: D81A5500 00008232
	ds_write_b32 v50, v131 offset:23808                        // 000000004770: D81A5D00 00008332
	s_waitcnt lgkmcnt(0)                                       // 000000004778: BF8CC07F
	s_barrier                                                  // 00000000477C: BF8A0000
	v_lshrrev_b32_e32 v50, 4, v0                               // 000000004780: 20640084
	v_lshlrev_b32_e32 v51, 6, v50                              // 000000004784: 24666486
	v_and_b32_e32 v50, 15, v0                                  // 000000004788: 2664008F
	v_lshlrev_b32_e32 v50, 1, v50                              // 00000000478C: 24646481
	v_add_u32_e32 v51, v50, v51                                // 000000004790: 68666732
	v_lshlrev_b32_e32 v50, 2, v51                              // 000000004794: 24646682
	ds_read_b64 v[128:129], v50 offset:20736                   // 000000004798: D8EC5100 80000032
	ds_read_b64 v[130:131], v50 offset:20864                   // 0000000047A0: D8EC5180 82000032
	ds_read_b64 v[132:133], v50 offset:21760                   // 0000000047A8: D8EC5500 84000032
	ds_read_b64 v[134:135], v50 offset:21888                   // 0000000047B0: D8EC5580 86000032
	ds_read_b64 v[136:137], v50 offset:22784                   // 0000000047B8: D8EC5900 88000032
	ds_read_b64 v[138:139], v50 offset:22912                   // 0000000047C0: D8EC5980 8A000032
	ds_read_b64 v[140:141], v50 offset:23808                   // 0000000047C8: D8EC5D00 8C000032
	ds_read_b64 v[142:143], v50 offset:23936                   // 0000000047D0: D8EC5D80 8E000032
	s_add_u32 s12, s56, s12                                    // 0000000047D8: 800C0C38
	s_addc_u32 s13, 0, s13                                     // 0000000047DC: 820D0D80
	s_add_u32 s16, s79, s16                                    // 0000000047E0: 8010104F
	s_addc_u32 s17, 0, s17                                     // 0000000047E4: 82111180
	s_mov_b32 s80, 0                                           // 0000000047E8: BED00080
	s_waitcnt vmcnt(0) expcnt(0) lgkmcnt(0)                    // 0000000047EC: BF8C0000

00000000000047f0 <label_067C>:
	s_waitcnt vmcnt(20)                                        // 0000000047F0: BF8C4F74
	s_barrier                                                  // 0000000047F4: BF8A0000
	v_mfma_f32_16x16x32_fp8_fp8 v[192:195], a[0:1], v[128:129], 0// 0000000047F8: D3F300C0 0A030100
	v_mfma_f32_16x16x32_fp8_fp8 v[192:195], a[2:3], v[130:131], v[192:195]// 000000004800: D3F300C0 0F030502
	buffer_load_dwordx4 a[32:35], v42, s[12:15], 0 offen       // 000000004808: E05C1000 8083202A
	v_mfma_f32_16x16x32_fp8_fp8 v[196:199], a[0:1], v[136:137], 0// 000000004810: D3F300C4 0A031100
	v_mfma_f32_16x16x32_fp8_fp8 v[196:199], a[2:3], v[138:139], v[196:199]// 000000004818: D3F300C4 0F131502
	buffer_load_dword v24, v6, s[16:19], 0 offen               // 000000004820: E0501000 80041806
	v_mfma_f32_16x16x32_fp8_fp8 v[200:203], a[4:5], v[128:129], 0// 000000004828: D3F300C8 0A030104
	v_mfma_f32_16x16x32_fp8_fp8 v[200:203], a[6:7], v[130:131], v[200:203]// 000000004830: D3F300C8 0F230506
	buffer_load_dwordx4 a[36:39], v43, s[12:15], 0 offen       // 000000004838: E05C1000 8083242B
	v_mfma_f32_16x16x32_fp8_fp8 v[204:207], a[4:5], v[136:137], 0// 000000004840: D3F300CC 0A031104
	v_mfma_f32_16x16x32_fp8_fp8 v[204:207], a[6:7], v[138:139], v[204:207]// 000000004848: D3F300CC 0F331506
	v_mfma_f32_16x16x32_fp8_fp8 v[208:211], a[8:9], v[128:129], 0// 000000004850: D3F300D0 0A030108
	v_mfma_f32_16x16x32_fp8_fp8 v[208:211], a[10:11], v[130:131], v[208:211]// 000000004858: D3F300D0 0F43050A
	buffer_load_dwordx4 a[40:43], v44, s[12:15], 0 offen       // 000000004860: E05C1000 8083282C
	v_mfma_f32_16x16x32_fp8_fp8 v[212:215], a[8:9], v[136:137], 0// 000000004868: D3F300D4 0A031108
	v_mfma_f32_16x16x32_fp8_fp8 v[212:215], a[10:11], v[138:139], v[212:215]// 000000004870: D3F300D4 0F53150A
	v_mfma_f32_16x16x32_fp8_fp8 v[216:219], a[12:13], v[128:129], 0// 000000004878: D3F300D8 0A03010C
	v_mfma_f32_16x16x32_fp8_fp8 v[216:219], a[14:15], v[130:131], v[216:219]// 000000004880: D3F300D8 0F63050E
	buffer_load_dwordx4 a[44:47], v45, s[12:15], 0 offen       // 000000004888: E05C1000 80832C2D
	s_add_u32 s12, s78, s12                                    // 000000004890: 800C0C4E
	s_addc_u32 s13, 0, s13                                     // 000000004894: 820D0D80
	v_mfma_f32_16x16x32_fp8_fp8 v[220:223], a[12:13], v[136:137], 0// 000000004898: D3F300DC 0A03110C
	v_mfma_f32_16x16x32_fp8_fp8 v[220:223], a[14:15], v[138:139], v[220:223]// 0000000048A0: D3F300DC 0F73150E
	s_waitcnt vmcnt(21)                                        // 0000000048A8: BF8C4F75
	v_mfma_f32_16x16x32_fp8_fp8 v[192:195], a[16:17], v[132:133], v[192:195]// 0000000048AC: D3F300C0 0F030910
	v_mfma_f32_16x16x32_fp8_fp8 v[192:195], a[18:19], v[134:135], v[192:195]// 0000000048B4: D3F300C0 0F030D12
	buffer_load_dwordx4 a[48:51], v42, s[12:15], 0 offen       // 0000000048BC: E05C1000 8083302A
	v_mfma_f32_16x16x32_fp8_fp8 v[196:199], a[16:17], v[140:141], v[196:199]// 0000000048C4: D3F300C4 0F131910
	v_mfma_f32_16x16x32_fp8_fp8 v[196:199], a[18:19], v[142:143], v[196:199]// 0000000048CC: D3F300C4 0F131D12
	v_mfma_f32_16x16x32_fp8_fp8 v[200:203], a[20:21], v[132:133], v[200:203]// 0000000048D4: D3F300C8 0F230914
	v_mfma_f32_16x16x32_fp8_fp8 v[200:203], a[22:23], v[134:135], v[200:203]// 0000000048DC: D3F300C8 0F230D16
	buffer_load_dwordx4 a[52:55], v43, s[12:15], 0 offen       // 0000000048E4: E05C1000 8083342B
	v_mfma_f32_16x16x32_fp8_fp8 v[204:207], a[20:21], v[140:141], v[204:207]// 0000000048EC: D3F300CC 0F331914
	v_mfma_f32_16x16x32_fp8_fp8 v[204:207], a[22:23], v[142:143], v[204:207]// 0000000048F4: D3F300CC 0F331D16
	v_mfma_f32_16x16x32_fp8_fp8 v[208:211], a[24:25], v[132:133], v[208:211]// 0000000048FC: D3F300D0 0F430918
	v_mfma_f32_16x16x32_fp8_fp8 v[208:211], a[26:27], v[134:135], v[208:211]// 000000004904: D3F300D0 0F430D1A
	buffer_load_dwordx4 a[56:59], v44, s[12:15], 0 offen       // 00000000490C: E05C1000 8083382C
	v_mfma_f32_16x16x32_fp8_fp8 v[212:215], a[24:25], v[140:141], v[212:215]// 000000004914: D3F300D4 0F531918
	v_mfma_f32_16x16x32_fp8_fp8 v[212:215], a[26:27], v[142:143], v[212:215]// 00000000491C: D3F300D4 0F531D1A
	v_mfma_f32_16x16x32_fp8_fp8 v[216:219], a[28:29], v[132:133], v[216:219]// 000000004924: D3F300D8 0F63091C
	v_mfma_f32_16x16x32_fp8_fp8 v[216:219], a[30:31], v[134:135], v[216:219]// 00000000492C: D3F300D8 0F630D1E
	buffer_load_dwordx4 a[60:63], v45, s[12:15], 0 offen       // 000000004934: E05C1000 80833C2D
	v_mfma_f32_16x16x32_fp8_fp8 v[220:223], a[28:29], v[140:141], v[220:223]// 00000000493C: D3F300DC 0F73191C
	v_mfma_f32_16x16x32_fp8_fp8 v[220:223], a[30:31], v[142:143], v[220:223]// 000000004944: D3F300DC 0F731D1E
	v_mul_f32_dpp v50, v23, v30 row_newbcast:0 row_mask:0xf bank_mask:0xf// 00000000494C: 0A643CFA FF015017
	v_mov_b32_e32 v51, v50                                     // 000000004954: 7E660332
	v_pk_mul_f32 v[192:193], v[50:51], v[192:193]              // 000000004958: D3B140C0 18038132
	v_pk_mul_f32 v[194:195], v[50:51], v[194:195]              // 000000004960: D3B140C2 18038532
	v_pk_mul_f32 v[200:201], v[50:51], v[200:201]              // 000000004968: D3B140C8 18039132
	v_pk_mul_f32 v[202:203], v[50:51], v[202:203]              // 000000004970: D3B140CA 18039532
	v_mul_f32_dpp v50, v23, v30 row_newbcast:1 row_mask:0xf bank_mask:0xf// 000000004978: 0A643CFA FF015117
	v_mov_b32_e32 v51, v50                                     // 000000004980: 7E660332
	v_pk_mul_f32 v[208:209], v[50:51], v[208:209]              // 000000004984: D3B140D0 1803A132
	v_pk_mul_f32 v[210:211], v[50:51], v[210:211]              // 00000000498C: D3B140D2 1803A532
	v_pk_mul_f32 v[216:217], v[50:51], v[216:217]              // 000000004994: D3B140D8 1803B132
	v_pk_mul_f32 v[218:219], v[50:51], v[218:219]              // 00000000499C: D3B140DA 1803B532
	v_mul_f32_dpp v50, v23, v31 row_newbcast:0 row_mask:0xf bank_mask:0xf// 0000000049A4: 0A643EFA FF015017
	v_mov_b32_e32 v51, v50                                     // 0000000049AC: 7E660332
	v_pk_mul_f32 v[196:197], v[50:51], v[196:197]              // 0000000049B0: D3B140C4 18038932
	v_pk_mul_f32 v[198:199], v[50:51], v[198:199]              // 0000000049B8: D3B140C6 18038D32
	v_pk_mul_f32 v[204:205], v[50:51], v[204:205]              // 0000000049C0: D3B140CC 18039932
	v_pk_mul_f32 v[206:207], v[50:51], v[206:207]              // 0000000049C8: D3B140CE 18039D32
	v_mul_f32_dpp v50, v23, v31 row_newbcast:1 row_mask:0xf bank_mask:0xf// 0000000049D0: 0A643EFA FF015117
	v_mov_b32_e32 v51, v50                                     // 0000000049D8: 7E660332
	v_pk_mul_f32 v[212:213], v[50:51], v[212:213]              // 0000000049DC: D3B140D4 1803A932
	v_pk_mul_f32 v[214:215], v[50:51], v[214:215]              // 0000000049E4: D3B140D6 1803AD32
	v_pk_mul_f32 v[220:221], v[50:51], v[220:221]              // 0000000049EC: D3B140DC 1803B932
	v_pk_mul_f32 v[222:223], v[50:51], v[222:223]              // 0000000049F4: D3B140DE 1803BD32
	s_add_u32 s60, 0x200, s80                                  // 0000000049FC: 803C50FF 00000200
	s_cmp_lt_u32 s60, s81                                      // 000000004A04: BF0A513C
	s_cselect_b32 s56, s56, 0                                  // 000000004A08: 85388038
	s_cselect_b32 s78, s78, 0                                  // 000000004A0C: 854E804E
	s_cselect_b32 s79, s79, 0                                  // 000000004A10: 854F804F
	s_add_u32 s12, s56, s12                                    // 000000004A14: 800C0C38
	s_addc_u32 s13, 0, s13                                     // 000000004A18: 820D0D80
	s_add_u32 s16, s79, s16                                    // 000000004A1C: 8010104F
	s_addc_u32 s17, 0, s17                                     // 000000004A20: 82111180
	v_mov_b32_e32 v50, v25                                     // 000000004A24: 7E640319
	v_mov_b32_e32 v51, v25                                     // 000000004A28: 7E660319
	v_pk_mul_f32 v[192:193], v[50:51], v[192:193]              // 000000004A2C: D3B140C0 18038132
	v_pk_mul_f32 v[194:195], v[50:51], v[194:195]              // 000000004A34: D3B140C2 18038532
	v_pk_mul_f32 v[200:201], v[50:51], v[200:201]              // 000000004A3C: D3B140C8 18039132
	v_pk_mul_f32 v[202:203], v[50:51], v[202:203]              // 000000004A44: D3B140CA 18039532
	v_pk_mul_f32 v[208:209], v[50:51], v[208:209]              // 000000004A4C: D3B140D0 1803A132
	v_pk_mul_f32 v[210:211], v[50:51], v[210:211]              // 000000004A54: D3B140D2 1803A532
	v_pk_mul_f32 v[216:217], v[50:51], v[216:217]              // 000000004A5C: D3B140D8 1803B132
	v_pk_mul_f32 v[218:219], v[50:51], v[218:219]              // 000000004A64: D3B140DA 1803B532
	v_mov_b32_e32 v50, v26                                     // 000000004A6C: 7E64031A
	v_mov_b32_e32 v51, v26                                     // 000000004A70: 7E66031A
	v_pk_mul_f32 v[196:197], v[50:51], v[196:197]              // 000000004A74: D3B140C4 18038932
	v_pk_mul_f32 v[198:199], v[50:51], v[198:199]              // 000000004A7C: D3B140C6 18038D32
	v_pk_mul_f32 v[204:205], v[50:51], v[204:205]              // 000000004A84: D3B140CC 18039932
	v_pk_mul_f32 v[206:207], v[50:51], v[206:207]              // 000000004A8C: D3B140CE 18039D32
	v_pk_mul_f32 v[212:213], v[50:51], v[212:213]              // 000000004A94: D3B140D4 1803A932
	v_pk_mul_f32 v[214:215], v[50:51], v[214:215]              // 000000004A9C: D3B140D6 1803AD32
	v_pk_mul_f32 v[220:221], v[50:51], v[220:221]              // 000000004AA4: D3B140DC 1803B932
	v_pk_mul_f32 v[222:223], v[50:51], v[222:223]              // 000000004AAC: D3B140DE 1803BD32
	v_cmp_u_f32_e64 s[48:49], v192, v192                       // 000000004AB4: D0480030 000381C0
	v_add3_u32 v46, v192, v49, 1                               // 000000004ABC: D1FF002E 020663C0
	v_cndmask_b32_e64 v50, v46, v48, s[48:49]                  // 000000004AC4: D1000032 00C2612E
	v_cmp_u_f32_e64 s[48:49], v193, v193                       // 000000004ACC: D0480030 000383C1
	v_add3_u32 v46, v193, v49, 1                               // 000000004AD4: D1FF002E 020663C1
	v_cndmask_b32_e64 v51, v46, v48, s[48:49]                  // 000000004ADC: D1000033 00C2612E
	v_perm_b32 v192, v51, v50, s52                             // 000000004AE4: D1ED00C0 00D26533
	v_cmp_u_f32_e64 s[48:49], v194, v194                       // 000000004AEC: D0480030 000385C2
	v_add3_u32 v46, v194, v49, 1                               // 000000004AF4: D1FF002E 020663C2
	v_cndmask_b32_e64 v50, v46, v48, s[48:49]                  // 000000004AFC: D1000032 00C2612E
	v_cmp_u_f32_e64 s[48:49], v195, v195                       // 000000004B04: D0480030 000387C3
	v_add3_u32 v46, v195, v49, 1                               // 000000004B0C: D1FF002E 020663C3
	v_cndmask_b32_e64 v51, v46, v48, s[48:49]                  // 000000004B14: D1000033 00C2612E
	v_perm_b32 v193, v51, v50, s52                             // 000000004B1C: D1ED00C1 00D26533
	v_cmp_u_f32_e64 s[48:49], v196, v196                       // 000000004B24: D0480030 000389C4
	v_add3_u32 v46, v196, v49, 1                               // 000000004B2C: D1FF002E 020663C4
	v_cndmask_b32_e64 v50, v46, v48, s[48:49]                  // 000000004B34: D1000032 00C2612E
	v_cmp_u_f32_e64 s[48:49], v197, v197                       // 000000004B3C: D0480030 00038BC5
	v_add3_u32 v46, v197, v49, 1                               // 000000004B44: D1FF002E 020663C5
	v_cndmask_b32_e64 v51, v46, v48, s[48:49]                  // 000000004B4C: D1000033 00C2612E
	v_perm_b32 v194, v51, v50, s52                             // 000000004B54: D1ED00C2 00D26533
	v_cmp_u_f32_e64 s[48:49], v198, v198                       // 000000004B5C: D0480030 00038DC6
	v_add3_u32 v46, v198, v49, 1                               // 000000004B64: D1FF002E 020663C6
	v_cndmask_b32_e64 v50, v46, v48, s[48:49]                  // 000000004B6C: D1000032 00C2612E
	v_cmp_u_f32_e64 s[48:49], v199, v199                       // 000000004B74: D0480030 00038FC7
	v_add3_u32 v46, v199, v49, 1                               // 000000004B7C: D1FF002E 020663C7
	v_cndmask_b32_e64 v51, v46, v48, s[48:49]                  // 000000004B84: D1000033 00C2612E
	v_perm_b32 v195, v51, v50, s52                             // 000000004B8C: D1ED00C3 00D26533
	v_cmp_u_f32_e64 s[48:49], v200, v200                       // 000000004B94: D0480030 000391C8
	v_add3_u32 v46, v200, v49, 1                               // 000000004B9C: D1FF002E 020663C8
	v_cndmask_b32_e64 v50, v46, v48, s[48:49]                  // 000000004BA4: D1000032 00C2612E
	v_cmp_u_f32_e64 s[48:49], v201, v201                       // 000000004BAC: D0480030 000393C9
	v_add3_u32 v46, v201, v49, 1                               // 000000004BB4: D1FF002E 020663C9
	v_cndmask_b32_e64 v51, v46, v48, s[48:49]                  // 000000004BBC: D1000033 00C2612E
	v_perm_b32 v196, v51, v50, s52                             // 000000004BC4: D1ED00C4 00D26533
	v_cmp_u_f32_e64 s[48:49], v202, v202                       // 000000004BCC: D0480030 000395CA
	v_add3_u32 v46, v202, v49, 1                               // 000000004BD4: D1FF002E 020663CA
	v_cndmask_b32_e64 v50, v46, v48, s[48:49]                  // 000000004BDC: D1000032 00C2612E
	v_cmp_u_f32_e64 s[48:49], v203, v203                       // 000000004BE4: D0480030 000397CB
	v_add3_u32 v46, v203, v49, 1                               // 000000004BEC: D1FF002E 020663CB
	v_cndmask_b32_e64 v51, v46, v48, s[48:49]                  // 000000004BF4: D1000033 00C2612E
	v_perm_b32 v197, v51, v50, s52                             // 000000004BFC: D1ED00C5 00D26533
	v_cmp_u_f32_e64 s[48:49], v204, v204                       // 000000004C04: D0480030 000399CC
	v_add3_u32 v46, v204, v49, 1                               // 000000004C0C: D1FF002E 020663CC
	v_cndmask_b32_e64 v50, v46, v48, s[48:49]                  // 000000004C14: D1000032 00C2612E
	v_cmp_u_f32_e64 s[48:49], v205, v205                       // 000000004C1C: D0480030 00039BCD
	v_add3_u32 v46, v205, v49, 1                               // 000000004C24: D1FF002E 020663CD
	v_cndmask_b32_e64 v51, v46, v48, s[48:49]                  // 000000004C2C: D1000033 00C2612E
	v_perm_b32 v198, v51, v50, s52                             // 000000004C34: D1ED00C6 00D26533
	v_cmp_u_f32_e64 s[48:49], v206, v206                       // 000000004C3C: D0480030 00039DCE
	v_add3_u32 v46, v206, v49, 1                               // 000000004C44: D1FF002E 020663CE
	v_cndmask_b32_e64 v50, v46, v48, s[48:49]                  // 000000004C4C: D1000032 00C2612E
	v_cmp_u_f32_e64 s[48:49], v207, v207                       // 000000004C54: D0480030 00039FCF
	v_add3_u32 v46, v207, v49, 1                               // 000000004C5C: D1FF002E 020663CF
	v_cndmask_b32_e64 v51, v46, v48, s[48:49]                  // 000000004C64: D1000033 00C2612E
	v_perm_b32 v199, v51, v50, s52                             // 000000004C6C: D1ED00C7 00D26533
	v_cmp_u_f32_e64 s[48:49], v208, v208                       // 000000004C74: D0480030 0003A1D0
	v_add3_u32 v46, v208, v49, 1                               // 000000004C7C: D1FF002E 020663D0
	v_cndmask_b32_e64 v50, v46, v48, s[48:49]                  // 000000004C84: D1000032 00C2612E
	v_cmp_u_f32_e64 s[48:49], v209, v209                       // 000000004C8C: D0480030 0003A3D1
	v_add3_u32 v46, v209, v49, 1                               // 000000004C94: D1FF002E 020663D1
	v_cndmask_b32_e64 v51, v46, v48, s[48:49]                  // 000000004C9C: D1000033 00C2612E
	v_perm_b32 v200, v51, v50, s52                             // 000000004CA4: D1ED00C8 00D26533
	v_cmp_u_f32_e64 s[48:49], v210, v210                       // 000000004CAC: D0480030 0003A5D2
	v_add3_u32 v46, v210, v49, 1                               // 000000004CB4: D1FF002E 020663D2
	v_cndmask_b32_e64 v50, v46, v48, s[48:49]                  // 000000004CBC: D1000032 00C2612E
	v_cmp_u_f32_e64 s[48:49], v211, v211                       // 000000004CC4: D0480030 0003A7D3
	v_add3_u32 v46, v211, v49, 1                               // 000000004CCC: D1FF002E 020663D3
	v_cndmask_b32_e64 v51, v46, v48, s[48:49]                  // 000000004CD4: D1000033 00C2612E
	v_perm_b32 v201, v51, v50, s52                             // 000000004CDC: D1ED00C9 00D26533
	v_cmp_u_f32_e64 s[48:49], v212, v212                       // 000000004CE4: D0480030 0003A9D4
	v_add3_u32 v46, v212, v49, 1                               // 000000004CEC: D1FF002E 020663D4
	v_cndmask_b32_e64 v50, v46, v48, s[48:49]                  // 000000004CF4: D1000032 00C2612E
	v_cmp_u_f32_e64 s[48:49], v213, v213                       // 000000004CFC: D0480030 0003ABD5
	v_add3_u32 v46, v213, v49, 1                               // 000000004D04: D1FF002E 020663D5
	v_cndmask_b32_e64 v51, v46, v48, s[48:49]                  // 000000004D0C: D1000033 00C2612E
	v_perm_b32 v202, v51, v50, s52                             // 000000004D14: D1ED00CA 00D26533
	v_cmp_u_f32_e64 s[48:49], v214, v214                       // 000000004D1C: D0480030 0003ADD6
	v_add3_u32 v46, v214, v49, 1                               // 000000004D24: D1FF002E 020663D6
	v_cndmask_b32_e64 v50, v46, v48, s[48:49]                  // 000000004D2C: D1000032 00C2612E
	v_cmp_u_f32_e64 s[48:49], v215, v215                       // 000000004D34: D0480030 0003AFD7
	v_add3_u32 v46, v215, v49, 1                               // 000000004D3C: D1FF002E 020663D7
	v_cndmask_b32_e64 v51, v46, v48, s[48:49]                  // 000000004D44: D1000033 00C2612E
	v_perm_b32 v203, v51, v50, s52                             // 000000004D4C: D1ED00CB 00D26533
	v_cmp_u_f32_e64 s[48:49], v216, v216                       // 000000004D54: D0480030 0003B1D8
	v_add3_u32 v46, v216, v49, 1                               // 000000004D5C: D1FF002E 020663D8
	v_cndmask_b32_e64 v50, v46, v48, s[48:49]                  // 000000004D64: D1000032 00C2612E
	v_cmp_u_f32_e64 s[48:49], v217, v217                       // 000000004D6C: D0480030 0003B3D9
	v_add3_u32 v46, v217, v49, 1                               // 000000004D74: D1FF002E 020663D9
	v_cndmask_b32_e64 v51, v46, v48, s[48:49]                  // 000000004D7C: D1000033 00C2612E
	v_perm_b32 v204, v51, v50, s52                             // 000000004D84: D1ED00CC 00D26533
	v_cmp_u_f32_e64 s[48:49], v218, v218                       // 000000004D8C: D0480030 0003B5DA
	v_add3_u32 v46, v218, v49, 1                               // 000000004D94: D1FF002E 020663DA
	v_cndmask_b32_e64 v50, v46, v48, s[48:49]                  // 000000004D9C: D1000032 00C2612E
	v_cmp_u_f32_e64 s[48:49], v219, v219                       // 000000004DA4: D0480030 0003B7DB
	v_add3_u32 v46, v219, v49, 1                               // 000000004DAC: D1FF002E 020663DB
	v_cndmask_b32_e64 v51, v46, v48, s[48:49]                  // 000000004DB4: D1000033 00C2612E
	v_perm_b32 v205, v51, v50, s52                             // 000000004DBC: D1ED00CD 00D26533
	v_cmp_u_f32_e64 s[48:49], v220, v220                       // 000000004DC4: D0480030 0003B9DC
	v_add3_u32 v46, v220, v49, 1                               // 000000004DCC: D1FF002E 020663DC
	v_cndmask_b32_e64 v50, v46, v48, s[48:49]                  // 000000004DD4: D1000032 00C2612E
	v_cmp_u_f32_e64 s[48:49], v221, v221                       // 000000004DDC: D0480030 0003BBDD
	v_add3_u32 v46, v221, v49, 1                               // 000000004DE4: D1FF002E 020663DD
	v_cndmask_b32_e64 v51, v46, v48, s[48:49]                  // 000000004DEC: D1000033 00C2612E
	v_perm_b32 v206, v51, v50, s52                             // 000000004DF4: D1ED00CE 00D26533
	v_cmp_u_f32_e64 s[48:49], v222, v222                       // 000000004DFC: D0480030 0003BDDE
	v_add3_u32 v46, v222, v49, 1                               // 000000004E04: D1FF002E 020663DE
	v_cndmask_b32_e64 v50, v46, v48, s[48:49]                  // 000000004E0C: D1000032 00C2612E
	v_cmp_u_f32_e64 s[48:49], v223, v223                       // 000000004E14: D0480030 0003BFDF
	v_add3_u32 v46, v223, v49, 1                               // 000000004E1C: D1FF002E 020663DF
	v_cndmask_b32_e64 v51, v46, v48, s[48:49]                  // 000000004E24: D1000033 00C2612E
	v_perm_b32 v207, v51, v50, s52                             // 000000004E2C: D1ED00CF 00D26533
	ds_write_b64 v4, v[192:193] offset:24832                   // 000000004E34: D89A6100 0000C004
	ds_write_b64 v4, v[194:195] offset:33536                   // 000000004E3C: D89A8300 0000C204
	ds_write_b64 v4, v[196:197] offset:27008                   // 000000004E44: D89A6980 0000C404
	ds_write_b64 v4, v[198:199] offset:35712                   // 000000004E4C: D89A8B80 0000C604
	ds_write_b64 v4, v[200:201] offset:29184                   // 000000004E54: D89A7200 0000C804
	ds_write_b64 v4, v[202:203] offset:37888                   // 000000004E5C: D89A9400 0000CA04
	ds_write_b64 v4, v[204:205] offset:31360                   // 000000004E64: D89A7A80 0000CC04
	ds_write_b64 v4, v[206:207] offset:40064                   // 000000004E6C: D89A9C80 0000CE04
	s_waitcnt lgkmcnt(0)                                       // 000000004E74: BF8CC07F
	s_barrier                                                  // 000000004E78: BF8A0000
	ds_read_b32 v64, v5 offset:24832                           // 000000004E7C: D86C6100 40000005
	ds_read_b32 v65, v5 offset:29184                           // 000000004E84: D86C7200 41000005
	ds_read_b32 v66, v5 offset:24864                           // 000000004E8C: D86C6120 42000005
	ds_read_b32 v67, v5 offset:29216                           // 000000004E94: D86C7220 43000005
	ds_read_b32 v68, v5 offset:24896                           // 000000004E9C: D86C6140 44000005
	ds_read_b32 v69, v5 offset:29248                           // 000000004EA4: D86C7240 45000005
	ds_read_b32 v70, v5 offset:24928                           // 000000004EAC: D86C6160 46000005
	ds_read_b32 v71, v5 offset:29280                           // 000000004EB4: D86C7260 47000005
	ds_read_b32 v72, v5 offset:33536                           // 000000004EBC: D86C8300 48000005
	ds_read_b32 v73, v5 offset:37888                           // 000000004EC4: D86C9400 49000005
	ds_read_b32 v74, v5 offset:33568                           // 000000004ECC: D86C8320 4A000005
	ds_read_b32 v75, v5 offset:37920                           // 000000004ED4: D86C9420 4B000005
	ds_read_b32 v76, v5 offset:33600                           // 000000004EDC: D86C8340 4C000005
	ds_read_b32 v77, v5 offset:37952                           // 000000004EE4: D86C9440 4D000005
	ds_read_b32 v78, v5 offset:33632                           // 000000004EEC: D86C8360 4E000005
	ds_read_b32 v79, v5 offset:37984                           // 000000004EF4: D86C9460 4F000005
	s_waitcnt lgkmcnt(0)                                       // 000000004EFC: BF8CC07F
	s_mov_b64 exec, s[20:21]                                   // 000000004F00: BEFE0114
	global_atomic_pk_add_bf16 v80, v64, s[8:9]                 // 000000004F04: DD488000 00084050
	s_mov_b64 exec, s[36:37]                                   // 000000004F0C: BEFE0124
	s_mov_b64 exec, s[20:21]                                   // 000000004F10: BEFE0114
	global_atomic_pk_add_bf16 v80, v65, s[8:9] offset:256      // 000000004F14: DD488100 00084150
	s_mov_b64 exec, s[36:37]                                   // 000000004F1C: BEFE0124
	s_mov_b64 exec, s[22:23]                                   // 000000004F20: BEFE0116
	global_atomic_pk_add_bf16 v82, v66, s[8:9]                 // 000000004F24: DD488000 00084252
	s_mov_b64 exec, s[36:37]                                   // 000000004F2C: BEFE0124
	s_mov_b64 exec, s[22:23]                                   // 000000004F30: BEFE0116
	global_atomic_pk_add_bf16 v82, v67, s[8:9] offset:256      // 000000004F34: DD488100 00084352
	s_mov_b64 exec, s[36:37]                                   // 000000004F3C: BEFE0124
	s_mov_b64 exec, s[24:25]                                   // 000000004F40: BEFE0118
	global_atomic_pk_add_bf16 v84, v68, s[8:9]                 // 000000004F44: DD488000 00084454
	s_mov_b64 exec, s[36:37]                                   // 000000004F4C: BEFE0124
	s_mov_b64 exec, s[24:25]                                   // 000000004F50: BEFE0118
	global_atomic_pk_add_bf16 v84, v69, s[8:9] offset:256      // 000000004F54: DD488100 00084554
	s_mov_b64 exec, s[36:37]                                   // 000000004F5C: BEFE0124
	s_mov_b64 exec, s[26:27]                                   // 000000004F60: BEFE011A
	global_atomic_pk_add_bf16 v86, v70, s[8:9]                 // 000000004F64: DD488000 00084656
	s_mov_b64 exec, s[36:37]                                   // 000000004F6C: BEFE0124
	s_mov_b64 exec, s[26:27]                                   // 000000004F70: BEFE011A
	global_atomic_pk_add_bf16 v86, v71, s[8:9] offset:256      // 000000004F74: DD488100 00084756
	s_mov_b64 exec, s[36:37]                                   // 000000004F7C: BEFE0124
	s_mov_b64 exec, s[28:29]                                   // 000000004F80: BEFE011C
	global_atomic_pk_add_bf16 v88, v72, s[8:9]                 // 000000004F84: DD488000 00084858
	s_mov_b64 exec, s[36:37]                                   // 000000004F8C: BEFE0124
	s_mov_b64 exec, s[28:29]                                   // 000000004F90: BEFE011C
	global_atomic_pk_add_bf16 v88, v73, s[8:9] offset:256      // 000000004F94: DD488100 00084958
	s_mov_b64 exec, s[36:37]                                   // 000000004F9C: BEFE0124
	s_mov_b64 exec, s[30:31]                                   // 000000004FA0: BEFE011E
	global_atomic_pk_add_bf16 v90, v74, s[8:9]                 // 000000004FA4: DD488000 00084A5A
	s_mov_b64 exec, s[36:37]                                   // 000000004FAC: BEFE0124
	s_mov_b64 exec, s[30:31]                                   // 000000004FB0: BEFE011E
	global_atomic_pk_add_bf16 v90, v75, s[8:9] offset:256      // 000000004FB4: DD488100 00084B5A
	s_mov_b64 exec, s[36:37]                                   // 000000004FBC: BEFE0124
	s_mov_b64 exec, s[32:33]                                   // 000000004FC0: BEFE0120
	global_atomic_pk_add_bf16 v92, v76, s[8:9]                 // 000000004FC4: DD488000 00084C5C
	s_mov_b64 exec, s[36:37]                                   // 000000004FCC: BEFE0124
	s_mov_b64 exec, s[32:33]                                   // 000000004FD0: BEFE0120
	global_atomic_pk_add_bf16 v92, v77, s[8:9] offset:256      // 000000004FD4: DD488100 00084D5C
	s_mov_b64 exec, s[36:37]                                   // 000000004FDC: BEFE0124
	s_mov_b64 exec, s[34:35]                                   // 000000004FE0: BEFE0122
	global_atomic_pk_add_bf16 v94, v78, s[8:9]                 // 000000004FE4: DD488000 00084E5E
	s_mov_b64 exec, s[36:37]                                   // 000000004FEC: BEFE0124
	s_mov_b64 exec, s[34:35]                                   // 000000004FF0: BEFE0122
	global_atomic_pk_add_bf16 v94, v79, s[8:9] offset:256      // 000000004FF4: DD488100 00084F5E
	s_mov_b64 exec, s[36:37]                                   // 000000004FFC: BEFE0124
	s_add_u32 s8, s59, s8                                      // 000000005000: 8008083B
	s_addc_u32 s9, 0, s9                                       // 000000005004: 82090980
	s_addk_i32 s80, 0x100                                      // 000000005008: B7500100
	s_cmp_lt_i32 s80, s81                                      // 00000000500C: BF045150
	s_cbranch_scc0 label_0A8F                                  // 000000005010: BF84020A
	s_waitcnt vmcnt(20)                                        // 000000005014: BF8C4F74
	s_barrier                                                  // 000000005018: BF8A0000
	v_mfma_f32_16x16x32_fp8_fp8 v[224:227], a[32:33], v[128:129], 0// 00000000501C: D3F300E0 0A030120
	v_mfma_f32_16x16x32_fp8_fp8 v[224:227], a[34:35], v[130:131], v[224:227]// 000000005024: D3F300E0 0F830522
	buffer_load_dwordx4 a[0:3], v42, s[12:15], 0 offen         // 00000000502C: E05C1000 8083002A
	v_mfma_f32_16x16x32_fp8_fp8 v[228:231], a[32:33], v[136:137], 0// 000000005034: D3F300E4 0A031120
	v_mfma_f32_16x16x32_fp8_fp8 v[228:231], a[34:35], v[138:139], v[228:231]// 00000000503C: D3F300E4 0F931522
	buffer_load_dword v23, v6, s[16:19], 0 offen               // 000000005044: E0501000 80041706
	v_mfma_f32_16x16x32_fp8_fp8 v[232:235], a[36:37], v[128:129], 0// 00000000504C: D3F300E8 0A030124
	v_mfma_f32_16x16x32_fp8_fp8 v[232:235], a[38:39], v[130:131], v[232:235]// 000000005054: D3F300E8 0FA30526
	buffer_load_dwordx4 a[4:7], v43, s[12:15], 0 offen         // 00000000505C: E05C1000 8083042B
	v_mfma_f32_16x16x32_fp8_fp8 v[236:239], a[36:37], v[136:137], 0// 000000005064: D3F300EC 0A031124
	v_mfma_f32_16x16x32_fp8_fp8 v[236:239], a[38:39], v[138:139], v[236:239]// 00000000506C: D3F300EC 0FB31526
	v_mfma_f32_16x16x32_fp8_fp8 v[240:243], a[40:41], v[128:129], 0// 000000005074: D3F300F0 0A030128
	v_mfma_f32_16x16x32_fp8_fp8 v[240:243], a[42:43], v[130:131], v[240:243]// 00000000507C: D3F300F0 0FC3052A
	buffer_load_dwordx4 a[8:11], v44, s[12:15], 0 offen        // 000000005084: E05C1000 8083082C
	v_mfma_f32_16x16x32_fp8_fp8 v[244:247], a[40:41], v[136:137], 0// 00000000508C: D3F300F4 0A031128
	v_mfma_f32_16x16x32_fp8_fp8 v[244:247], a[42:43], v[138:139], v[244:247]// 000000005094: D3F300F4 0FD3152A
	v_mfma_f32_16x16x32_fp8_fp8 v[248:251], a[44:45], v[128:129], 0// 00000000509C: D3F300F8 0A03012C
	v_mfma_f32_16x16x32_fp8_fp8 v[248:251], a[46:47], v[130:131], v[248:251]// 0000000050A4: D3F300F8 0FE3052E
	buffer_load_dwordx4 a[12:15], v45, s[12:15], 0 offen       // 0000000050AC: E05C1000 80830C2D
	s_add_u32 s12, s78, s12                                    // 0000000050B4: 800C0C4E
	s_addc_u32 s13, 0, s13                                     // 0000000050B8: 820D0D80
	v_mfma_f32_16x16x32_fp8_fp8 v[252:255], a[44:45], v[136:137], 0// 0000000050BC: D3F300FC 0A03112C
	v_mfma_f32_16x16x32_fp8_fp8 v[252:255], a[46:47], v[138:139], v[252:255]// 0000000050C4: D3F300FC 0FF3152E
	s_waitcnt vmcnt(21)                                        // 0000000050CC: BF8C4F75
	v_mfma_f32_16x16x32_fp8_fp8 v[224:227], a[48:49], v[132:133], v[224:227]// 0000000050D0: D3F300E0 0F830930
	v_mfma_f32_16x16x32_fp8_fp8 v[224:227], a[50:51], v[134:135], v[224:227]// 0000000050D8: D3F300E0 0F830D32
	buffer_load_dwordx4 a[16:19], v42, s[12:15], 0 offen       // 0000000050E0: E05C1000 8083102A
	v_mfma_f32_16x16x32_fp8_fp8 v[228:231], a[48:49], v[140:141], v[228:231]// 0000000050E8: D3F300E4 0F931930
	v_mfma_f32_16x16x32_fp8_fp8 v[228:231], a[50:51], v[142:143], v[228:231]// 0000000050F0: D3F300E4 0F931D32
	v_mfma_f32_16x16x32_fp8_fp8 v[232:235], a[52:53], v[132:133], v[232:235]// 0000000050F8: D3F300E8 0FA30934
	v_mfma_f32_16x16x32_fp8_fp8 v[232:235], a[54:55], v[134:135], v[232:235]// 000000005100: D3F300E8 0FA30D36
	buffer_load_dwordx4 a[20:23], v43, s[12:15], 0 offen       // 000000005108: E05C1000 8083142B
	v_mfma_f32_16x16x32_fp8_fp8 v[236:239], a[52:53], v[140:141], v[236:239]// 000000005110: D3F300EC 0FB31934
	v_mfma_f32_16x16x32_fp8_fp8 v[236:239], a[54:55], v[142:143], v[236:239]// 000000005118: D3F300EC 0FB31D36
	v_mfma_f32_16x16x32_fp8_fp8 v[240:243], a[56:57], v[132:133], v[240:243]// 000000005120: D3F300F0 0FC30938
	v_mfma_f32_16x16x32_fp8_fp8 v[240:243], a[58:59], v[134:135], v[240:243]// 000000005128: D3F300F0 0FC30D3A
	buffer_load_dwordx4 a[24:27], v44, s[12:15], 0 offen       // 000000005130: E05C1000 8083182C
	v_mfma_f32_16x16x32_fp8_fp8 v[244:247], a[56:57], v[140:141], v[244:247]// 000000005138: D3F300F4 0FD31938
	v_mfma_f32_16x16x32_fp8_fp8 v[244:247], a[58:59], v[142:143], v[244:247]// 000000005140: D3F300F4 0FD31D3A
	v_mfma_f32_16x16x32_fp8_fp8 v[248:251], a[60:61], v[132:133], v[248:251]// 000000005148: D3F300F8 0FE3093C
	v_mfma_f32_16x16x32_fp8_fp8 v[248:251], a[62:63], v[134:135], v[248:251]// 000000005150: D3F300F8 0FE30D3E
	buffer_load_dwordx4 a[28:31], v45, s[12:15], 0 offen       // 000000005158: E05C1000 80831C2D
	v_mfma_f32_16x16x32_fp8_fp8 v[252:255], a[60:61], v[140:141], v[252:255]// 000000005160: D3F300FC 0FF3193C
	v_mfma_f32_16x16x32_fp8_fp8 v[252:255], a[62:63], v[142:143], v[252:255]// 000000005168: D3F300FC 0FF31D3E
	v_mul_f32_dpp v50, v24, v30 row_newbcast:0 row_mask:0xf bank_mask:0xf// 000000005170: 0A643CFA FF015018
	v_mov_b32_e32 v51, v50                                     // 000000005178: 7E660332
	v_pk_mul_f32 v[224:225], v[50:51], v[224:225]              // 00000000517C: D3B140E0 1803C132
	v_pk_mul_f32 v[226:227], v[50:51], v[226:227]              // 000000005184: D3B140E2 1803C532
	v_pk_mul_f32 v[232:233], v[50:51], v[232:233]              // 00000000518C: D3B140E8 1803D132
	v_pk_mul_f32 v[234:235], v[50:51], v[234:235]              // 000000005194: D3B140EA 1803D532
	v_mul_f32_dpp v50, v24, v30 row_newbcast:1 row_mask:0xf bank_mask:0xf// 00000000519C: 0A643CFA FF015118
	v_mov_b32_e32 v51, v50                                     // 0000000051A4: 7E660332
	v_pk_mul_f32 v[240:241], v[50:51], v[240:241]              // 0000000051A8: D3B140F0 1803E132
	v_pk_mul_f32 v[242:243], v[50:51], v[242:243]              // 0000000051B0: D3B140F2 1803E532
	v_pk_mul_f32 v[248:249], v[50:51], v[248:249]              // 0000000051B8: D3B140F8 1803F132
	v_pk_mul_f32 v[250:251], v[50:51], v[250:251]              // 0000000051C0: D3B140FA 1803F532
	v_mul_f32_dpp v50, v24, v31 row_newbcast:0 row_mask:0xf bank_mask:0xf// 0000000051C8: 0A643EFA FF015018
	v_mov_b32_e32 v51, v50                                     // 0000000051D0: 7E660332
	v_pk_mul_f32 v[228:229], v[50:51], v[228:229]              // 0000000051D4: D3B140E4 1803C932
	v_pk_mul_f32 v[230:231], v[50:51], v[230:231]              // 0000000051DC: D3B140E6 1803CD32
	v_pk_mul_f32 v[236:237], v[50:51], v[236:237]              // 0000000051E4: D3B140EC 1803D932
	v_pk_mul_f32 v[238:239], v[50:51], v[238:239]              // 0000000051EC: D3B140EE 1803DD32
	v_mul_f32_dpp v50, v24, v31 row_newbcast:1 row_mask:0xf bank_mask:0xf// 0000000051F4: 0A643EFA FF015118
	v_mov_b32_e32 v51, v50                                     // 0000000051FC: 7E660332
	v_pk_mul_f32 v[244:245], v[50:51], v[244:245]              // 000000005200: D3B140F4 1803E932
	v_pk_mul_f32 v[246:247], v[50:51], v[246:247]              // 000000005208: D3B140F6 1803ED32
	v_pk_mul_f32 v[252:253], v[50:51], v[252:253]              // 000000005210: D3B140FC 1803F932
	v_pk_mul_f32 v[254:255], v[50:51], v[254:255]              // 000000005218: D3B140FE 1803FD32
	s_add_u32 s60, 0x200, s80                                  // 000000005220: 803C50FF 00000200
	s_cmp_lt_u32 s60, s81                                      // 000000005228: BF0A513C
	s_cselect_b32 s56, s56, 0                                  // 00000000522C: 85388038
	s_cselect_b32 s78, s78, 0                                  // 000000005230: 854E804E
	s_cselect_b32 s79, s79, 0                                  // 000000005234: 854F804F
	s_add_u32 s12, s56, s12                                    // 000000005238: 800C0C38
	s_addc_u32 s13, 0, s13                                     // 00000000523C: 820D0D80
	s_add_u32 s16, s79, s16                                    // 000000005240: 8010104F
	s_addc_u32 s17, 0, s17                                     // 000000005244: 82111180
	v_mov_b32_e32 v50, v25                                     // 000000005248: 7E640319
	v_mov_b32_e32 v51, v25                                     // 00000000524C: 7E660319
	v_pk_mul_f32 v[224:225], v[50:51], v[224:225]              // 000000005250: D3B140E0 1803C132
	v_pk_mul_f32 v[226:227], v[50:51], v[226:227]              // 000000005258: D3B140E2 1803C532
	v_pk_mul_f32 v[232:233], v[50:51], v[232:233]              // 000000005260: D3B140E8 1803D132
	v_pk_mul_f32 v[234:235], v[50:51], v[234:235]              // 000000005268: D3B140EA 1803D532
	v_pk_mul_f32 v[240:241], v[50:51], v[240:241]              // 000000005270: D3B140F0 1803E132
	v_pk_mul_f32 v[242:243], v[50:51], v[242:243]              // 000000005278: D3B140F2 1803E532
	v_pk_mul_f32 v[248:249], v[50:51], v[248:249]              // 000000005280: D3B140F8 1803F132
	v_pk_mul_f32 v[250:251], v[50:51], v[250:251]              // 000000005288: D3B140FA 1803F532
	v_mov_b32_e32 v50, v26                                     // 000000005290: 7E64031A
	v_mov_b32_e32 v51, v26                                     // 000000005294: 7E66031A
	v_pk_mul_f32 v[228:229], v[50:51], v[228:229]              // 000000005298: D3B140E4 1803C932
	v_pk_mul_f32 v[230:231], v[50:51], v[230:231]              // 0000000052A0: D3B140E6 1803CD32
	v_pk_mul_f32 v[236:237], v[50:51], v[236:237]              // 0000000052A8: D3B140EC 1803D932
	v_pk_mul_f32 v[238:239], v[50:51], v[238:239]              // 0000000052B0: D3B140EE 1803DD32
	v_pk_mul_f32 v[244:245], v[50:51], v[244:245]              // 0000000052B8: D3B140F4 1803E932
	v_pk_mul_f32 v[246:247], v[50:51], v[246:247]              // 0000000052C0: D3B140F6 1803ED32
	v_pk_mul_f32 v[252:253], v[50:51], v[252:253]              // 0000000052C8: D3B140FC 1803F932
	v_pk_mul_f32 v[254:255], v[50:51], v[254:255]              // 0000000052D0: D3B140FE 1803FD32
	v_cmp_u_f32_e64 s[48:49], v224, v224                       // 0000000052D8: D0480030 0003C1E0
	v_add3_u32 v46, v224, v49, 1                               // 0000000052E0: D1FF002E 020663E0
	v_cndmask_b32_e64 v50, v46, v48, s[48:49]                  // 0000000052E8: D1000032 00C2612E
	v_cmp_u_f32_e64 s[48:49], v225, v225                       // 0000000052F0: D0480030 0003C3E1
	v_add3_u32 v46, v225, v49, 1                               // 0000000052F8: D1FF002E 020663E1
	v_cndmask_b32_e64 v51, v46, v48, s[48:49]                  // 000000005300: D1000033 00C2612E
	v_perm_b32 v224, v51, v50, s52                             // 000000005308: D1ED00E0 00D26533
	v_cmp_u_f32_e64 s[48:49], v226, v226                       // 000000005310: D0480030 0003C5E2
	v_add3_u32 v46, v226, v49, 1                               // 000000005318: D1FF002E 020663E2
	v_cndmask_b32_e64 v50, v46, v48, s[48:49]                  // 000000005320: D1000032 00C2612E
	v_cmp_u_f32_e64 s[48:49], v227, v227                       // 000000005328: D0480030 0003C7E3
	v_add3_u32 v46, v227, v49, 1                               // 000000005330: D1FF002E 020663E3
	v_cndmask_b32_e64 v51, v46, v48, s[48:49]                  // 000000005338: D1000033 00C2612E
	v_perm_b32 v225, v51, v50, s52                             // 000000005340: D1ED00E1 00D26533
	v_cmp_u_f32_e64 s[48:49], v228, v228                       // 000000005348: D0480030 0003C9E4
	v_add3_u32 v46, v228, v49, 1                               // 000000005350: D1FF002E 020663E4
	v_cndmask_b32_e64 v50, v46, v48, s[48:49]                  // 000000005358: D1000032 00C2612E
	v_cmp_u_f32_e64 s[48:49], v229, v229                       // 000000005360: D0480030 0003CBE5
	v_add3_u32 v46, v229, v49, 1                               // 000000005368: D1FF002E 020663E5
	v_cndmask_b32_e64 v51, v46, v48, s[48:49]                  // 000000005370: D1000033 00C2612E
	v_perm_b32 v226, v51, v50, s52                             // 000000005378: D1ED00E2 00D26533
	v_cmp_u_f32_e64 s[48:49], v230, v230                       // 000000005380: D0480030 0003CDE6
	v_add3_u32 v46, v230, v49, 1                               // 000000005388: D1FF002E 020663E6
	v_cndmask_b32_e64 v50, v46, v48, s[48:49]                  // 000000005390: D1000032 00C2612E
	v_cmp_u_f32_e64 s[48:49], v231, v231                       // 000000005398: D0480030 0003CFE7
	v_add3_u32 v46, v231, v49, 1                               // 0000000053A0: D1FF002E 020663E7
	v_cndmask_b32_e64 v51, v46, v48, s[48:49]                  // 0000000053A8: D1000033 00C2612E
	v_perm_b32 v227, v51, v50, s52                             // 0000000053B0: D1ED00E3 00D26533
	v_cmp_u_f32_e64 s[48:49], v232, v232                       // 0000000053B8: D0480030 0003D1E8
	v_add3_u32 v46, v232, v49, 1                               // 0000000053C0: D1FF002E 020663E8
	v_cndmask_b32_e64 v50, v46, v48, s[48:49]                  // 0000000053C8: D1000032 00C2612E
	v_cmp_u_f32_e64 s[48:49], v233, v233                       // 0000000053D0: D0480030 0003D3E9
	v_add3_u32 v46, v233, v49, 1                               // 0000000053D8: D1FF002E 020663E9
	v_cndmask_b32_e64 v51, v46, v48, s[48:49]                  // 0000000053E0: D1000033 00C2612E
	v_perm_b32 v228, v51, v50, s52                             // 0000000053E8: D1ED00E4 00D26533
	v_cmp_u_f32_e64 s[48:49], v234, v234                       // 0000000053F0: D0480030 0003D5EA
	v_add3_u32 v46, v234, v49, 1                               // 0000000053F8: D1FF002E 020663EA
	v_cndmask_b32_e64 v50, v46, v48, s[48:49]                  // 000000005400: D1000032 00C2612E
	v_cmp_u_f32_e64 s[48:49], v235, v235                       // 000000005408: D0480030 0003D7EB
	v_add3_u32 v46, v235, v49, 1                               // 000000005410: D1FF002E 020663EB
	v_cndmask_b32_e64 v51, v46, v48, s[48:49]                  // 000000005418: D1000033 00C2612E
	v_perm_b32 v229, v51, v50, s52                             // 000000005420: D1ED00E5 00D26533
	v_cmp_u_f32_e64 s[48:49], v236, v236                       // 000000005428: D0480030 0003D9EC
	v_add3_u32 v46, v236, v49, 1                               // 000000005430: D1FF002E 020663EC
	v_cndmask_b32_e64 v50, v46, v48, s[48:49]                  // 000000005438: D1000032 00C2612E
	v_cmp_u_f32_e64 s[48:49], v237, v237                       // 000000005440: D0480030 0003DBED
	v_add3_u32 v46, v237, v49, 1                               // 000000005448: D1FF002E 020663ED
	v_cndmask_b32_e64 v51, v46, v48, s[48:49]                  // 000000005450: D1000033 00C2612E
	v_perm_b32 v230, v51, v50, s52                             // 000000005458: D1ED00E6 00D26533
	v_cmp_u_f32_e64 s[48:49], v238, v238                       // 000000005460: D0480030 0003DDEE
	v_add3_u32 v46, v238, v49, 1                               // 000000005468: D1FF002E 020663EE
	v_cndmask_b32_e64 v50, v46, v48, s[48:49]                  // 000000005470: D1000032 00C2612E
	v_cmp_u_f32_e64 s[48:49], v239, v239                       // 000000005478: D0480030 0003DFEF
	v_add3_u32 v46, v239, v49, 1                               // 000000005480: D1FF002E 020663EF
	v_cndmask_b32_e64 v51, v46, v48, s[48:49]                  // 000000005488: D1000033 00C2612E
	v_perm_b32 v231, v51, v50, s52                             // 000000005490: D1ED00E7 00D26533
	v_cmp_u_f32_e64 s[48:49], v240, v240                       // 000000005498: D0480030 0003E1F0
	v_add3_u32 v46, v240, v49, 1                               // 0000000054A0: D1FF002E 020663F0
	v_cndmask_b32_e64 v50, v46, v48, s[48:49]                  // 0000000054A8: D1000032 00C2612E
	v_cmp_u_f32_e64 s[48:49], v241, v241                       // 0000000054B0: D0480030 0003E3F1
	v_add3_u32 v46, v241, v49, 1                               // 0000000054B8: D1FF002E 020663F1
	v_cndmask_b32_e64 v51, v46, v48, s[48:49]                  // 0000000054C0: D1000033 00C2612E
	v_perm_b32 v232, v51, v50, s52                             // 0000000054C8: D1ED00E8 00D26533
	v_cmp_u_f32_e64 s[48:49], v242, v242                       // 0000000054D0: D0480030 0003E5F2
	v_add3_u32 v46, v242, v49, 1                               // 0000000054D8: D1FF002E 020663F2
	v_cndmask_b32_e64 v50, v46, v48, s[48:49]                  // 0000000054E0: D1000032 00C2612E
	v_cmp_u_f32_e64 s[48:49], v243, v243                       // 0000000054E8: D0480030 0003E7F3
	v_add3_u32 v46, v243, v49, 1                               // 0000000054F0: D1FF002E 020663F3
	v_cndmask_b32_e64 v51, v46, v48, s[48:49]                  // 0000000054F8: D1000033 00C2612E
	v_perm_b32 v233, v51, v50, s52                             // 000000005500: D1ED00E9 00D26533
	v_cmp_u_f32_e64 s[48:49], v244, v244                       // 000000005508: D0480030 0003E9F4
	v_add3_u32 v46, v244, v49, 1                               // 000000005510: D1FF002E 020663F4
	v_cndmask_b32_e64 v50, v46, v48, s[48:49]                  // 000000005518: D1000032 00C2612E
	v_cmp_u_f32_e64 s[48:49], v245, v245                       // 000000005520: D0480030 0003EBF5
	v_add3_u32 v46, v245, v49, 1                               // 000000005528: D1FF002E 020663F5
	v_cndmask_b32_e64 v51, v46, v48, s[48:49]                  // 000000005530: D1000033 00C2612E
	v_perm_b32 v234, v51, v50, s52                             // 000000005538: D1ED00EA 00D26533
	v_cmp_u_f32_e64 s[48:49], v246, v246                       // 000000005540: D0480030 0003EDF6
	v_add3_u32 v46, v246, v49, 1                               // 000000005548: D1FF002E 020663F6
	v_cndmask_b32_e64 v50, v46, v48, s[48:49]                  // 000000005550: D1000032 00C2612E
	v_cmp_u_f32_e64 s[48:49], v247, v247                       // 000000005558: D0480030 0003EFF7
	v_add3_u32 v46, v247, v49, 1                               // 000000005560: D1FF002E 020663F7
	v_cndmask_b32_e64 v51, v46, v48, s[48:49]                  // 000000005568: D1000033 00C2612E
	v_perm_b32 v235, v51, v50, s52                             // 000000005570: D1ED00EB 00D26533
	v_cmp_u_f32_e64 s[48:49], v248, v248                       // 000000005578: D0480030 0003F1F8
	v_add3_u32 v46, v248, v49, 1                               // 000000005580: D1FF002E 020663F8
	v_cndmask_b32_e64 v50, v46, v48, s[48:49]                  // 000000005588: D1000032 00C2612E
	v_cmp_u_f32_e64 s[48:49], v249, v249                       // 000000005590: D0480030 0003F3F9
	v_add3_u32 v46, v249, v49, 1                               // 000000005598: D1FF002E 020663F9
	v_cndmask_b32_e64 v51, v46, v48, s[48:49]                  // 0000000055A0: D1000033 00C2612E
	v_perm_b32 v236, v51, v50, s52                             // 0000000055A8: D1ED00EC 00D26533
	v_cmp_u_f32_e64 s[48:49], v250, v250                       // 0000000055B0: D0480030 0003F5FA
	v_add3_u32 v46, v250, v49, 1                               // 0000000055B8: D1FF002E 020663FA
	v_cndmask_b32_e64 v50, v46, v48, s[48:49]                  // 0000000055C0: D1000032 00C2612E
	v_cmp_u_f32_e64 s[48:49], v251, v251                       // 0000000055C8: D0480030 0003F7FB
	v_add3_u32 v46, v251, v49, 1                               // 0000000055D0: D1FF002E 020663FB
	v_cndmask_b32_e64 v51, v46, v48, s[48:49]                  // 0000000055D8: D1000033 00C2612E
	v_perm_b32 v237, v51, v50, s52                             // 0000000055E0: D1ED00ED 00D26533
	v_cmp_u_f32_e64 s[48:49], v252, v252                       // 0000000055E8: D0480030 0003F9FC
	v_add3_u32 v46, v252, v49, 1                               // 0000000055F0: D1FF002E 020663FC
	v_cndmask_b32_e64 v50, v46, v48, s[48:49]                  // 0000000055F8: D1000032 00C2612E
	v_cmp_u_f32_e64 s[48:49], v253, v253                       // 000000005600: D0480030 0003FBFD
	v_add3_u32 v46, v253, v49, 1                               // 000000005608: D1FF002E 020663FD
	v_cndmask_b32_e64 v51, v46, v48, s[48:49]                  // 000000005610: D1000033 00C2612E
	v_perm_b32 v238, v51, v50, s52                             // 000000005618: D1ED00EE 00D26533
	v_cmp_u_f32_e64 s[48:49], v254, v254                       // 000000005620: D0480030 0003FDFE
	v_add3_u32 v46, v254, v49, 1                               // 000000005628: D1FF002E 020663FE
	v_cndmask_b32_e64 v50, v46, v48, s[48:49]                  // 000000005630: D1000032 00C2612E
	v_cmp_u_f32_e64 s[48:49], v255, v255                       // 000000005638: D0480030 0003FFFF
	v_add3_u32 v46, v255, v49, 1                               // 000000005640: D1FF002E 020663FF
	v_cndmask_b32_e64 v51, v46, v48, s[48:49]                  // 000000005648: D1000033 00C2612E
	v_perm_b32 v239, v51, v50, s52                             // 000000005650: D1ED00EF 00D26533
	ds_write_b64 v4, v[224:225] offset:24832                   // 000000005658: D89A6100 0000E004
	ds_write_b64 v4, v[226:227] offset:33536                   // 000000005660: D89A8300 0000E204
	ds_write_b64 v4, v[228:229] offset:27008                   // 000000005668: D89A6980 0000E404
	ds_write_b64 v4, v[230:231] offset:35712                   // 000000005670: D89A8B80 0000E604
	ds_write_b64 v4, v[232:233] offset:29184                   // 000000005678: D89A7200 0000E804
	ds_write_b64 v4, v[234:235] offset:37888                   // 000000005680: D89A9400 0000EA04
	ds_write_b64 v4, v[236:237] offset:31360                   // 000000005688: D89A7A80 0000EC04
	ds_write_b64 v4, v[238:239] offset:40064                   // 000000005690: D89A9C80 0000EE04
	s_waitcnt lgkmcnt(0)                                       // 000000005698: BF8CC07F
	s_barrier                                                  // 00000000569C: BF8A0000
	ds_read_b32 v64, v5 offset:24832                           // 0000000056A0: D86C6100 40000005
	ds_read_b32 v65, v5 offset:29184                           // 0000000056A8: D86C7200 41000005
	ds_read_b32 v66, v5 offset:24864                           // 0000000056B0: D86C6120 42000005
	ds_read_b32 v67, v5 offset:29216                           // 0000000056B8: D86C7220 43000005
	ds_read_b32 v68, v5 offset:24896                           // 0000000056C0: D86C6140 44000005
	ds_read_b32 v69, v5 offset:29248                           // 0000000056C8: D86C7240 45000005
	ds_read_b32 v70, v5 offset:24928                           // 0000000056D0: D86C6160 46000005
	ds_read_b32 v71, v5 offset:29280                           // 0000000056D8: D86C7260 47000005
	ds_read_b32 v72, v5 offset:33536                           // 0000000056E0: D86C8300 48000005
	ds_read_b32 v73, v5 offset:37888                           // 0000000056E8: D86C9400 49000005
	ds_read_b32 v74, v5 offset:33568                           // 0000000056F0: D86C8320 4A000005
	ds_read_b32 v75, v5 offset:37920                           // 0000000056F8: D86C9420 4B000005
	ds_read_b32 v76, v5 offset:33600                           // 000000005700: D86C8340 4C000005
	ds_read_b32 v77, v5 offset:37952                           // 000000005708: D86C9440 4D000005
	ds_read_b32 v78, v5 offset:33632                           // 000000005710: D86C8360 4E000005
	ds_read_b32 v79, v5 offset:37984                           // 000000005718: D86C9460 4F000005
	s_waitcnt lgkmcnt(0)                                       // 000000005720: BF8CC07F
	s_mov_b64 exec, s[20:21]                                   // 000000005724: BEFE0114
	global_atomic_pk_add_bf16 v80, v64, s[8:9]                 // 000000005728: DD488000 00084050
	s_mov_b64 exec, s[36:37]                                   // 000000005730: BEFE0124
	s_mov_b64 exec, s[20:21]                                   // 000000005734: BEFE0114
	global_atomic_pk_add_bf16 v80, v65, s[8:9] offset:256      // 000000005738: DD488100 00084150
	s_mov_b64 exec, s[36:37]                                   // 000000005740: BEFE0124
	s_mov_b64 exec, s[22:23]                                   // 000000005744: BEFE0116
	global_atomic_pk_add_bf16 v82, v66, s[8:9]                 // 000000005748: DD488000 00084252
	s_mov_b64 exec, s[36:37]                                   // 000000005750: BEFE0124
	s_mov_b64 exec, s[22:23]                                   // 000000005754: BEFE0116
	global_atomic_pk_add_bf16 v82, v67, s[8:9] offset:256      // 000000005758: DD488100 00084352
	s_mov_b64 exec, s[36:37]                                   // 000000005760: BEFE0124
	s_mov_b64 exec, s[24:25]                                   // 000000005764: BEFE0118
	global_atomic_pk_add_bf16 v84, v68, s[8:9]                 // 000000005768: DD488000 00084454
	s_mov_b64 exec, s[36:37]                                   // 000000005770: BEFE0124
	s_mov_b64 exec, s[24:25]                                   // 000000005774: BEFE0118
	global_atomic_pk_add_bf16 v84, v69, s[8:9] offset:256      // 000000005778: DD488100 00084554
	s_mov_b64 exec, s[36:37]                                   // 000000005780: BEFE0124
	s_mov_b64 exec, s[26:27]                                   // 000000005784: BEFE011A
	global_atomic_pk_add_bf16 v86, v70, s[8:9]                 // 000000005788: DD488000 00084656
	s_mov_b64 exec, s[36:37]                                   // 000000005790: BEFE0124
	s_mov_b64 exec, s[26:27]                                   // 000000005794: BEFE011A
	global_atomic_pk_add_bf16 v86, v71, s[8:9] offset:256      // 000000005798: DD488100 00084756
	s_mov_b64 exec, s[36:37]                                   // 0000000057A0: BEFE0124
	s_mov_b64 exec, s[28:29]                                   // 0000000057A4: BEFE011C
	global_atomic_pk_add_bf16 v88, v72, s[8:9]                 // 0000000057A8: DD488000 00084858
	s_mov_b64 exec, s[36:37]                                   // 0000000057B0: BEFE0124
	s_mov_b64 exec, s[28:29]                                   // 0000000057B4: BEFE011C
	global_atomic_pk_add_bf16 v88, v73, s[8:9] offset:256      // 0000000057B8: DD488100 00084958
	s_mov_b64 exec, s[36:37]                                   // 0000000057C0: BEFE0124
	s_mov_b64 exec, s[30:31]                                   // 0000000057C4: BEFE011E
	global_atomic_pk_add_bf16 v90, v74, s[8:9]                 // 0000000057C8: DD488000 00084A5A
	s_mov_b64 exec, s[36:37]                                   // 0000000057D0: BEFE0124
	s_mov_b64 exec, s[30:31]                                   // 0000000057D4: BEFE011E
	global_atomic_pk_add_bf16 v90, v75, s[8:9] offset:256      // 0000000057D8: DD488100 00084B5A
	s_mov_b64 exec, s[36:37]                                   // 0000000057E0: BEFE0124
	s_mov_b64 exec, s[32:33]                                   // 0000000057E4: BEFE0120
	global_atomic_pk_add_bf16 v92, v76, s[8:9]                 // 0000000057E8: DD488000 00084C5C
	s_mov_b64 exec, s[36:37]                                   // 0000000057F0: BEFE0124
	s_mov_b64 exec, s[32:33]                                   // 0000000057F4: BEFE0120
	global_atomic_pk_add_bf16 v92, v77, s[8:9] offset:256      // 0000000057F8: DD488100 00084D5C
	s_mov_b64 exec, s[36:37]                                   // 000000005800: BEFE0124
	s_mov_b64 exec, s[34:35]                                   // 000000005804: BEFE0122
	global_atomic_pk_add_bf16 v94, v78, s[8:9]                 // 000000005808: DD488000 00084E5E
	s_mov_b64 exec, s[36:37]                                   // 000000005810: BEFE0124
	s_mov_b64 exec, s[34:35]                                   // 000000005814: BEFE0122
	global_atomic_pk_add_bf16 v94, v79, s[8:9] offset:256      // 000000005818: DD488100 00084F5E
	s_mov_b64 exec, s[36:37]                                   // 000000005820: BEFE0124
	s_add_u32 s8, s59, s8                                      // 000000005824: 8008083B
	s_addc_u32 s9, 0, s9                                       // 000000005828: 82090980
	s_addk_i32 s80, 0x100                                      // 00000000582C: B7500100
	s_cmp_lt_i32 s80, s81                                      // 000000005830: BF045150
	s_cbranch_scc0 label_0A8F                                  // 000000005834: BF840001
	s_branch label_067C                                        // 000000005838: BF82FBED

000000000000583c <label_0A8F>:
	s_nop 0                                                    // 00000000583C: BF800000
	s_nop 0                                                    // 000000005840: BF800000
	s_branch label_12D2                                        // 000000005844: BF820840

0000000000005848 <label_0A92>:
	s_waitcnt vmcnt(0) lgkmcnt(0)                              // 000000005848: BF8C0070
	s_barrier                                                  // 00000000584C: BF8A0000
	v_mfma_f32_16x16x32_fp8_fp8 v[144:147], a[0:1], v[192:193], 0// 000000005850: D3F30090 0A038100
	buffer_load_dwordx4 a[32:35], v40, s[92:95], 0 offen       // 000000005858: E05C1000 80972028
	buffer_load_dword v32, s[20:23], 0 offen lds               // 000000005860: E0511000 80050020
	s_add_u32 m0, 0x100, s51                                   // 000000005868: 807C33FF 00000100
	buffer_load_dword v33, s[20:23], 0 offen lds               // 000000005870: E0511000 80050021
	s_add_u32 m0, 0x200, s51                                   // 000000005878: 807C33FF 00000200
	v_mfma_f32_16x16x32_fp8_fp8 v[144:147], a[2:3], v[194:195], v[144:147]// 000000005880: D3F30090 0E438502
	v_mfma_f32_16x16x32_fp8_fp8 v[144:147], a[4:5], v[196:197], v[144:147]// 000000005888: D3F30090 0E438904
	buffer_load_dword v34, s[20:23], 0 offen lds               // 000000005890: E0511000 80050022
	s_add_u32 m0, 0x300, s51                                   // 000000005898: 807C33FF 00000300
	buffer_load_dword v35, s[20:23], 0 offen lds               // 0000000058A0: E0511000 80050023
	s_add_u32 m0, 0x400, s51                                   // 0000000058A8: 807C33FF 00000400
	v_mfma_f32_16x16x32_fp8_fp8 v[144:147], a[6:7], v[198:199], v[144:147]// 0000000058B0: D3F30090 0E438D06
	v_mfma_f32_16x16x32_fp8_fp8 v[148:151], a[0:1], v[208:209], 0// 0000000058B8: D3F30094 0A03A100
	buffer_load_dwordx4 a[36:39], v40, s[92:95], 0 offen offset:1024// 0000000058C0: E05C1400 80972428
	buffer_load_dword v36, s[20:23], 0 offen lds               // 0000000058C8: E0511000 80050024
	s_add_u32 m0, 0x500, s51                                   // 0000000058D0: 807C33FF 00000500
	buffer_load_dword v37, s[20:23], 0 offen lds               // 0000000058D8: E0511000 80050025
	s_add_u32 m0, 0x600, s51                                   // 0000000058E0: 807C33FF 00000600
	v_mfma_f32_16x16x32_fp8_fp8 v[148:151], a[2:3], v[210:211], v[148:151]// 0000000058E8: D3F30094 0E53A502
	v_mfma_f32_16x16x32_fp8_fp8 v[148:151], a[4:5], v[212:213], v[148:151]// 0000000058F0: D3F30094 0E53A904
	buffer_load_dword v38, s[20:23], 0 offen lds               // 0000000058F8: E0511000 80050026
	s_add_u32 m0, 0x700, s51                                   // 000000005900: 807C33FF 00000700
	buffer_load_dword v39, s[20:23], 0 offen lds               // 000000005908: E0511000 80050027
	s_add_u32 m0, s51, s76                                     // 000000005910: 807C4C33
	v_mfma_f32_16x16x32_fp8_fp8 v[148:151], a[6:7], v[214:215], v[148:151]// 000000005914: D3F30094 0E53AD06
	v_mfma_f32_16x16x32_fp8_fp8 v[152:155], a[16:17], v[192:193], 0// 00000000591C: D3F30098 0A038110
	buffer_load_dwordx4 a[48:51], v41, s[92:95], 0 offen       // 000000005924: E05C1000 80973029
	v_mfma_f32_16x16x32_fp8_fp8 v[152:155], a[18:19], v[194:195], v[152:155]// 00000000592C: D3F30098 0E638512
	v_mfma_f32_16x16x32_fp8_fp8 v[152:155], a[20:21], v[196:197], v[152:155]// 000000005934: D3F30098 0E638914
	v_mfma_f32_16x16x32_fp8_fp8 v[152:155], a[22:23], v[198:199], v[152:155]// 00000000593C: D3F30098 0E638D16
	v_mfma_f32_16x16x32_fp8_fp8 v[156:159], a[16:17], v[208:209], 0// 000000005944: D3F3009C 0A03A110
	buffer_load_dwordx4 a[52:55], v41, s[92:95], 0 offen offset:1024// 00000000594C: E05C1400 80973429
	v_mfma_f32_16x16x32_fp8_fp8 v[156:159], a[18:19], v[210:211], v[156:159]// 000000005954: D3F3009C 0E73A512
	v_mfma_f32_16x16x32_fp8_fp8 v[156:159], a[20:21], v[212:213], v[156:159]// 00000000595C: D3F3009C 0E73A914
	v_mfma_f32_16x16x32_fp8_fp8 v[156:159], a[22:23], v[214:215], v[156:159]// 000000005964: D3F3009C 0E73AD16
	buffer_load_dword v7, s[28:31], 0 offen lds                // 00000000596C: E0511000 80070007
	s_add_u32 m0, 0, s50                                       // 000000005974: 807C3280
	buffer_load_dword v24, v13, s[32:35], 0 offen              // 000000005978: E0501000 8008180D
	v_mul_f32_dpp v50, v23, v15 row_newbcast:0 row_mask:0xf bank_mask:0xf// 000000005980: 0A641EFA FF015017
	v_mov_b32_e32 v51, v50                                     // 000000005988: 7E660332
	v_pk_fma_f32 v[128:129], v[144:145], v[50:51], v[128:129]  // 00000000598C: D3B04080 1E026590
	v_pk_fma_f32 v[130:131], v[146:147], v[50:51], v[130:131]  // 000000005994: D3B04082 1E0A6592
	v_pk_fma_f32 v[136:137], v[152:153], v[50:51], v[136:137]  // 00000000599C: D3B04088 1E226598
	v_pk_fma_f32 v[138:139], v[154:155], v[50:51], v[138:139]  // 0000000059A4: D3B0408A 1E2A659A
	v_mul_f32_dpp v50, v23, v16 row_newbcast:0 row_mask:0xf bank_mask:0xf// 0000000059AC: 0A6420FA FF015017
	v_mov_b32_e32 v51, v50                                     // 0000000059B4: 7E660332
	v_pk_fma_f32 v[132:133], v[148:149], v[50:51], v[132:133]  // 0000000059B8: D3B04084 1E126594
	v_pk_fma_f32 v[134:135], v[150:151], v[50:51], v[134:135]  // 0000000059C0: D3B04086 1E1A6596
	v_pk_fma_f32 v[140:141], v[156:157], v[50:51], v[140:141]  // 0000000059C8: D3B0408C 1E32659C
	v_pk_fma_f32 v[142:143], v[158:159], v[50:51], v[142:143]  // 0000000059D0: D3B0408E 1E3A659E
	v_mfma_f32_16x16x32_fp8_fp8 v[144:147], a[8:9], v[200:201], 0// 0000000059D8: D3F30090 0A039108
	buffer_load_dwordx4 a[40:43], v40, s[92:95], 0 offen offset:2048// 0000000059E0: E05C1800 80972828
	v_mfma_f32_16x16x32_fp8_fp8 v[144:147], a[10:11], v[202:203], v[144:147]// 0000000059E8: D3F30090 0E43950A
	v_mfma_f32_16x16x32_fp8_fp8 v[144:147], a[12:13], v[204:205], v[144:147]// 0000000059F0: D3F30090 0E43990C
	v_mfma_f32_16x16x32_fp8_fp8 v[144:147], a[14:15], v[206:207], v[144:147]// 0000000059F8: D3F30090 0E439D0E
	v_mfma_f32_16x16x32_fp8_fp8 v[148:151], a[8:9], v[216:217], 0// 000000005A00: D3F30094 0A03B108
	buffer_load_dwordx4 a[44:47], v40, s[92:95], 0 offen offset:3072// 000000005A08: E05C1C00 80972C28
	v_mfma_f32_16x16x32_fp8_fp8 v[148:151], a[10:11], v[218:219], v[148:151]// 000000005A10: D3F30094 0E53B50A
	v_mfma_f32_16x16x32_fp8_fp8 v[148:151], a[12:13], v[220:221], v[148:151]// 000000005A18: D3F30094 0E53B90C
	v_mfma_f32_16x16x32_fp8_fp8 v[148:151], a[14:15], v[222:223], v[148:151]// 000000005A20: D3F30094 0E53BD0E
	v_mfma_f32_16x16x32_fp8_fp8 v[152:155], a[24:25], v[200:201], 0// 000000005A28: D3F30098 0A039118
	buffer_load_dwordx4 a[56:59], v41, s[92:95], 0 offen offset:2048// 000000005A30: E05C1800 80973829
	v_mfma_f32_16x16x32_fp8_fp8 v[152:155], a[26:27], v[202:203], v[152:155]// 000000005A38: D3F30098 0E63951A
	v_mfma_f32_16x16x32_fp8_fp8 v[152:155], a[28:29], v[204:205], v[152:155]// 000000005A40: D3F30098 0E63991C
	v_mfma_f32_16x16x32_fp8_fp8 v[152:155], a[30:31], v[206:207], v[152:155]// 000000005A48: D3F30098 0E639D1E
	v_mfma_f32_16x16x32_fp8_fp8 v[156:159], a[24:25], v[216:217], 0// 000000005A50: D3F3009C 0A03B118
	buffer_load_dwordx4 a[60:63], v41, s[92:95], 0 offen offset:3072// 000000005A58: E05C1C00 80973C29
	v_mfma_f32_16x16x32_fp8_fp8 v[156:159], a[26:27], v[218:219], v[156:159]// 000000005A60: D3F3009C 0E73B51A
	v_mfma_f32_16x16x32_fp8_fp8 v[156:159], a[28:29], v[220:221], v[156:159]// 000000005A68: D3F3009C 0E73B91C
	v_mfma_f32_16x16x32_fp8_fp8 v[156:159], a[30:31], v[222:223], v[156:159]// 000000005A70: D3F3009C 0E73BD1E
	v_mul_f32_dpp v50, v23, v17 row_newbcast:2 row_mask:0xf bank_mask:0xf// 000000005A78: 0A6422FA FF015217
	v_mov_b32_e32 v51, v50                                     // 000000005A80: 7E660332
	v_pk_fma_f32 v[128:129], v[144:145], v[50:51], v[128:129]  // 000000005A84: D3B04080 1E026590
	v_pk_fma_f32 v[130:131], v[146:147], v[50:51], v[130:131]  // 000000005A8C: D3B04082 1E0A6592
	v_pk_fma_f32 v[136:137], v[152:153], v[50:51], v[136:137]  // 000000005A94: D3B04088 1E226598
	v_pk_fma_f32 v[138:139], v[154:155], v[50:51], v[138:139]  // 000000005A9C: D3B0408A 1E2A659A
	v_mul_f32_dpp v50, v23, v18 row_newbcast:2 row_mask:0xf bank_mask:0xf// 000000005AA4: 0A6424FA FF015217
	v_mov_b32_e32 v51, v50                                     // 000000005AAC: 7E660332
	v_pk_fma_f32 v[132:133], v[148:149], v[50:51], v[132:133]  // 000000005AB0: D3B04084 1E126594
	v_pk_fma_f32 v[134:135], v[150:151], v[50:51], v[134:135]  // 000000005AB8: D3B04086 1E1A6596
	v_pk_fma_f32 v[140:141], v[156:157], v[50:51], v[140:141]  // 000000005AC0: D3B0408C 1E32659C
	v_pk_fma_f32 v[142:143], v[158:159], v[50:51], v[142:143]  // 000000005AC8: D3B0408E 1E3A659E
	s_add_u32 s60, 0x100, s80                                  // 000000005AD0: 803C50FF 00000100
	s_cmp_lt_u32 s60, s81                                      // 000000005AD8: BF0A513C
	s_cselect_b32 s4, s4, 0                                    // 000000005ADC: 85048004
	s_add_u32 s32, s4, s32                                     // 000000005AE0: 80202004
	s_addc_u32 s33, 0, s33                                     // 000000005AE4: 82212180
	s_waitcnt vmcnt(0)                                         // 000000005AE8: BF8C0F70
	s_barrier                                                  // 000000005AEC: BF8A0000
	v_mfma_f32_16x16x32_fp8_fp8 v[80:83], a[32:33], v[192:193], 0// 000000005AF0: D3F30050 0A038120
	buffer_load_dwordx4 a[0:3], v40, s[24:27], 0 offen         // 000000005AF8: E05C1000 80860028
	v_mfma_f32_16x16x32_fp8_fp8 v[80:83], a[34:35], v[194:195], v[80:83]// 000000005B00: D3F30050 0D438522
	v_mfma_f32_16x16x32_fp8_fp8 v[80:83], a[36:37], v[196:197], v[80:83]// 000000005B08: D3F30050 0D438924
	buffer_load_dword v23, v11, s[32:35], 0 offen              // 000000005B10: E0501000 8008170B
	ds_read_b128 v[224:227], v2 offset:9344                    // 000000005B18: D9FE2480 E0000002
	ds_read_b32 v19, v3 offset:17664                           // 000000005B20: D86C4500 13000003
	v_mfma_f32_16x16x32_fp8_fp8 v[80:83], a[38:39], v[198:199], v[80:83]// 000000005B28: D3F30050 0D438D26
	v_mfma_f32_16x16x32_fp8_fp8 v[84:87], a[32:33], v[208:209], 0// 000000005B30: D3F30054 0A03A120
	buffer_load_dwordx4 a[4:7], v40, s[24:27], 0 offen offset:1024// 000000005B38: E05C1400 80860428
	v_mfma_f32_16x16x32_fp8_fp8 v[84:87], a[34:35], v[210:211], v[84:87]// 000000005B40: D3F30054 0D53A522
	v_mfma_f32_16x16x32_fp8_fp8 v[84:87], a[36:37], v[212:213], v[84:87]// 000000005B48: D3F30054 0D53A924
	ds_read_b128 v[228:231], v2 offset:9408                    // 000000005B50: D9FE24C0 E4000002
	ds_read_b32 v20, v3 offset:17920                           // 000000005B58: D86C4600 14000003
	v_mfma_f32_16x16x32_fp8_fp8 v[84:87], a[38:39], v[214:215], v[84:87]// 000000005B60: D3F30054 0D53AD26
	v_mfma_f32_16x16x32_fp8_fp8 v[88:91], a[48:49], v[192:193], 0// 000000005B68: D3F30058 0A038130
	buffer_load_dwordx4 a[16:19], v41, s[24:27], 0 offen       // 000000005B70: E05C1000 80861029
	v_mfma_f32_16x16x32_fp8_fp8 v[88:91], a[50:51], v[194:195], v[88:91]// 000000005B78: D3F30058 0D638532
	v_mfma_f32_16x16x32_fp8_fp8 v[88:91], a[52:53], v[196:197], v[88:91]// 000000005B80: D3F30058 0D638934
	ds_read_b128 v[232:235], v2 offset:9472                    // 000000005B88: D9FE2500 E8000002
	ds_read_b32 v21, v3 offset:18176                           // 000000005B90: D86C4700 15000003
	v_mfma_f32_16x16x32_fp8_fp8 v[88:91], a[54:55], v[198:199], v[88:91]// 000000005B98: D3F30058 0D638D36
	v_mfma_f32_16x16x32_fp8_fp8 v[92:95], a[48:49], v[208:209], 0// 000000005BA0: D3F3005C 0A03A130
	buffer_load_dwordx4 a[20:23], v41, s[24:27], 0 offen offset:1024// 000000005BA8: E05C1400 80861429
	v_mfma_f32_16x16x32_fp8_fp8 v[92:95], a[50:51], v[210:211], v[92:95]// 000000005BB0: D3F3005C 0D73A532
	v_mfma_f32_16x16x32_fp8_fp8 v[92:95], a[52:53], v[212:213], v[92:95]// 000000005BB8: D3F3005C 0D73A934
	ds_read_b128 v[236:239], v2 offset:9536                    // 000000005BC0: D9FE2540 EC000002
	ds_read_b32 v22, v3 offset:18432                           // 000000005BC8: D86C4800 16000003
	v_mfma_f32_16x16x32_fp8_fp8 v[92:95], a[54:55], v[214:215], v[92:95]// 000000005BD0: D3F3005C 0D73AD36
	v_mul_f32_dpp v50, v24, v15 row_newbcast:0 row_mask:0xf bank_mask:0xf// 000000005BD8: 0A641EFA FF015018
	v_mov_b32_e32 v51, v50                                     // 000000005BE0: 7E660332
	v_pk_fma_f32 v[64:65], v[80:81], v[50:51], v[64:65]        // 000000005BE4: D3B04040 1D026550
	v_pk_fma_f32 v[66:67], v[82:83], v[50:51], v[66:67]        // 000000005BEC: D3B04042 1D0A6552
	v_pk_fma_f32 v[72:73], v[88:89], v[50:51], v[72:73]        // 000000005BF4: D3B04048 1D226558
	v_pk_fma_f32 v[74:75], v[90:91], v[50:51], v[74:75]        // 000000005BFC: D3B0404A 1D2A655A
	v_mul_f32_dpp v50, v24, v16 row_newbcast:0 row_mask:0xf bank_mask:0xf// 000000005C04: 0A6420FA FF015018
	v_mov_b32_e32 v51, v50                                     // 000000005C0C: 7E660332
	v_pk_fma_f32 v[68:69], v[84:85], v[50:51], v[68:69]        // 000000005C10: D3B04044 1D126554
	v_pk_fma_f32 v[70:71], v[86:87], v[50:51], v[70:71]        // 000000005C18: D3B04046 1D1A6556
	v_pk_fma_f32 v[76:77], v[92:93], v[50:51], v[76:77]        // 000000005C20: D3B0404C 1D32655C
	v_pk_fma_f32 v[78:79], v[94:95], v[50:51], v[78:79]        // 000000005C28: D3B0404E 1D3A655E
	v_mfma_f32_16x16x32_fp8_fp8 v[80:83], a[40:41], v[200:201], 0// 000000005C30: D3F30050 0A039128
	buffer_load_dwordx4 a[8:11], v40, s[24:27], 0 offen offset:2048// 000000005C38: E05C1800 80860828
	v_mfma_f32_16x16x32_fp8_fp8 v[80:83], a[42:43], v[202:203], v[80:83]// 000000005C40: D3F30050 0D43952A
	v_mfma_f32_16x16x32_fp8_fp8 v[80:83], a[44:45], v[204:205], v[80:83]// 000000005C48: D3F30050 0D43992C
	ds_read_b128 v[240:243], v2 offset:10368                   // 000000005C50: D9FE2880 F0000002
	v_mfma_f32_16x16x32_fp8_fp8 v[80:83], a[46:47], v[206:207], v[80:83]// 000000005C58: D3F30050 0D439D2E
	v_mfma_f32_16x16x32_fp8_fp8 v[84:87], a[40:41], v[216:217], 0// 000000005C60: D3F30054 0A03B128
	buffer_load_dwordx4 a[12:15], v40, s[24:27], 0 offen offset:3072// 000000005C68: E05C1C00 80860C28
	v_mfma_f32_16x16x32_fp8_fp8 v[84:87], a[42:43], v[218:219], v[84:87]// 000000005C70: D3F30054 0D53B52A
	v_mfma_f32_16x16x32_fp8_fp8 v[84:87], a[44:45], v[220:221], v[84:87]// 000000005C78: D3F30054 0D53B92C
	ds_read_b128 v[244:247], v2 offset:10432                   // 000000005C80: D9FE28C0 F4000002
	v_mfma_f32_16x16x32_fp8_fp8 v[84:87], a[46:47], v[222:223], v[84:87]// 000000005C88: D3F30054 0D53BD2E
	v_mfma_f32_16x16x32_fp8_fp8 v[88:91], a[56:57], v[200:201], 0// 000000005C90: D3F30058 0A039138
	buffer_load_dwordx4 a[24:27], v41, s[24:27], 0 offen offset:2048// 000000005C98: E05C1800 80861829
	v_mfma_f32_16x16x32_fp8_fp8 v[88:91], a[58:59], v[202:203], v[88:91]// 000000005CA0: D3F30058 0D63953A
	v_mfma_f32_16x16x32_fp8_fp8 v[88:91], a[60:61], v[204:205], v[88:91]// 000000005CA8: D3F30058 0D63993C
	ds_read_b128 v[248:251], v2 offset:10496                   // 000000005CB0: D9FE2900 F8000002
	v_mfma_f32_16x16x32_fp8_fp8 v[88:91], a[62:63], v[206:207], v[88:91]// 000000005CB8: D3F30058 0D639D3E
	v_mfma_f32_16x16x32_fp8_fp8 v[92:95], a[56:57], v[216:217], 0// 000000005CC0: D3F3005C 0A03B138
	buffer_load_dwordx4 a[28:31], v41, s[24:27], 0 offen offset:3072// 000000005CC8: E05C1C00 80861C29
	v_mfma_f32_16x16x32_fp8_fp8 v[92:95], a[58:59], v[218:219], v[92:95]// 000000005CD0: D3F3005C 0D73B53A
	v_mfma_f32_16x16x32_fp8_fp8 v[92:95], a[60:61], v[220:221], v[92:95]// 000000005CD8: D3F3005C 0D73B93C
	ds_read_b128 v[252:255], v2 offset:10560                   // 000000005CE0: D9FE2940 FC000002
	v_mfma_f32_16x16x32_fp8_fp8 v[92:95], a[62:63], v[222:223], v[92:95]// 000000005CE8: D3F3005C 0D73BD3E
	v_mul_f32_dpp v50, v24, v17 row_newbcast:2 row_mask:0xf bank_mask:0xf// 000000005CF0: 0A6422FA FF015218
	v_mov_b32_e32 v51, v50                                     // 000000005CF8: 7E660332
	v_pk_fma_f32 v[64:65], v[80:81], v[50:51], v[64:65]        // 000000005CFC: D3B04040 1D026550
	v_pk_fma_f32 v[66:67], v[82:83], v[50:51], v[66:67]        // 000000005D04: D3B04042 1D0A6552
	v_pk_fma_f32 v[72:73], v[88:89], v[50:51], v[72:73]        // 000000005D0C: D3B04048 1D226558
	v_pk_fma_f32 v[74:75], v[90:91], v[50:51], v[74:75]        // 000000005D14: D3B0404A 1D2A655A
	v_mul_f32_dpp v50, v24, v18 row_newbcast:2 row_mask:0xf bank_mask:0xf// 000000005D1C: 0A6424FA FF015218
	v_mov_b32_e32 v51, v50                                     // 000000005D24: 7E660332
	v_pk_fma_f32 v[68:69], v[84:85], v[50:51], v[68:69]        // 000000005D28: D3B04044 1D126554
	v_pk_fma_f32 v[70:71], v[86:87], v[50:51], v[70:71]        // 000000005D30: D3B04046 1D1A6556
	v_pk_fma_f32 v[76:77], v[92:93], v[50:51], v[76:77]        // 000000005D38: D3B0404C 1D32655C
	v_pk_fma_f32 v[78:79], v[94:95], v[50:51], v[78:79]        // 000000005D40: D3B0404E 1D3A655E
	s_add_u32 s60, 0x200, s80                                  // 000000005D48: 803C50FF 00000200
	s_cmp_lt_u32 s60, s81                                      // 000000005D50: BF0A513C
	s_cselect_b32 s57, s57, 0                                  // 000000005D54: 85398039
	s_cselect_b32 s3, s3, 0                                    // 000000005D58: 85038003
	s_add_u32 s60, 0x200, s80                                  // 000000005D5C: 803C50FF 00000200
	s_cmp_lt_u32 s60, s81                                      // 000000005D64: BF0A513C
	s_cselect_b32 s58, s58, 0                                  // 000000005D68: 853A803A
	s_add_u32 s20, s57, s20                                    // 000000005D6C: 80141439
	s_addc_u32 s21, 0, s21                                     // 000000005D70: 82151580
	s_add_u32 s28, s3, s28                                     // 000000005D74: 801C1C03
	s_addc_u32 s29, 0, s29                                     // 000000005D78: 821D1D80
	s_add_u32 s24, s58, s24                                    // 000000005D7C: 8018183A
	s_addc_u32 s25, 0, s25                                     // 000000005D80: 82191980
	s_add_u32 s92, s90, s92                                    // 000000005D84: 805C5C5A
	s_addc_u32 s93, 0, s93                                     // 000000005D88: 825D5D80
	s_addk_i32 s80, 0x100                                      // 000000005D8C: B7500100
	s_cmp_lt_i32 s80, s81                                      // 000000005D90: BF045150
	s_cbranch_scc0 label_0D3B                                  // 000000005D94: BF840155
	s_waitcnt vmcnt(0) lgkmcnt(0)                              // 000000005D98: BF8C0070
	s_barrier                                                  // 000000005D9C: BF8A0000
	v_mfma_f32_16x16x32_fp8_fp8 v[144:147], a[0:1], v[224:225], 0// 000000005DA0: D3F30090 0A03C100
	buffer_load_dwordx4 a[32:35], v40, s[92:95], 0 offen       // 000000005DA8: E05C1000 80972028
	buffer_load_dword v32, s[20:23], 0 offen lds               // 000000005DB0: E0511000 80050020
	s_add_u32 m0, 0x100, s50                                   // 000000005DB8: 807C32FF 00000100
	buffer_load_dword v33, s[20:23], 0 offen lds               // 000000005DC0: E0511000 80050021
	s_add_u32 m0, 0x200, s50                                   // 000000005DC8: 807C32FF 00000200
	v_mfma_f32_16x16x32_fp8_fp8 v[144:147], a[2:3], v[226:227], v[144:147]// 000000005DD0: D3F30090 0E43C502
	v_mfma_f32_16x16x32_fp8_fp8 v[144:147], a[4:5], v[228:229], v[144:147]// 000000005DD8: D3F30090 0E43C904
	buffer_load_dword v34, s[20:23], 0 offen lds               // 000000005DE0: E0511000 80050022
	s_add_u32 m0, 0x300, s50                                   // 000000005DE8: 807C32FF 00000300
	buffer_load_dword v35, s[20:23], 0 offen lds               // 000000005DF0: E0511000 80050023
	s_add_u32 m0, 0x400, s50                                   // 000000005DF8: 807C32FF 00000400
	v_mfma_f32_16x16x32_fp8_fp8 v[144:147], a[6:7], v[230:231], v[144:147]// 000000005E00: D3F30090 0E43CD06
	v_mfma_f32_16x16x32_fp8_fp8 v[148:151], a[0:1], v[240:241], 0// 000000005E08: D3F30094 0A03E100
	buffer_load_dwordx4 a[36:39], v40, s[92:95], 0 offen offset:1024// 000000005E10: E05C1400 80972428
	buffer_load_dword v36, s[20:23], 0 offen lds               // 000000005E18: E0511000 80050024
	s_add_u32 m0, 0x500, s50                                   // 000000005E20: 807C32FF 00000500
	buffer_load_dword v37, s[20:23], 0 offen lds               // 000000005E28: E0511000 80050025
	s_add_u32 m0, 0x600, s50                                   // 000000005E30: 807C32FF 00000600
	v_mfma_f32_16x16x32_fp8_fp8 v[148:151], a[2:3], v[242:243], v[148:151]// 000000005E38: D3F30094 0E53E502
	v_mfma_f32_16x16x32_fp8_fp8 v[148:151], a[4:5], v[244:245], v[148:151]// 000000005E40: D3F30094 0E53E904
	buffer_load_dword v38, s[20:23], 0 offen lds               // 000000005E48: E0511000 80050026
	s_add_u32 m0, 0x700, s50                                   // 000000005E50: 807C32FF 00000700
	buffer_load_dword v39, s[20:23], 0 offen lds               // 000000005E58: E0511000 80050027
	s_add_u32 m0, s50, s76                                     // 000000005E60: 807C4C32
	v_mfma_f32_16x16x32_fp8_fp8 v[148:151], a[6:7], v[246:247], v[148:151]// 000000005E64: D3F30094 0E53ED06
	v_mfma_f32_16x16x32_fp8_fp8 v[152:155], a[16:17], v[224:225], 0// 000000005E6C: D3F30098 0A03C110
	buffer_load_dwordx4 a[48:51], v41, s[92:95], 0 offen       // 000000005E74: E05C1000 80973029
	v_mfma_f32_16x16x32_fp8_fp8 v[152:155], a[18:19], v[226:227], v[152:155]// 000000005E7C: D3F30098 0E63C512
	v_mfma_f32_16x16x32_fp8_fp8 v[152:155], a[20:21], v[228:229], v[152:155]// 000000005E84: D3F30098 0E63C914
	v_mfma_f32_16x16x32_fp8_fp8 v[152:155], a[22:23], v[230:231], v[152:155]// 000000005E8C: D3F30098 0E63CD16
	v_mfma_f32_16x16x32_fp8_fp8 v[156:159], a[16:17], v[240:241], 0// 000000005E94: D3F3009C 0A03E110
	buffer_load_dwordx4 a[52:55], v41, s[92:95], 0 offen offset:1024// 000000005E9C: E05C1400 80973429
	v_mfma_f32_16x16x32_fp8_fp8 v[156:159], a[18:19], v[242:243], v[156:159]// 000000005EA4: D3F3009C 0E73E512
	v_mfma_f32_16x16x32_fp8_fp8 v[156:159], a[20:21], v[244:245], v[156:159]// 000000005EAC: D3F3009C 0E73E914
	v_mfma_f32_16x16x32_fp8_fp8 v[156:159], a[22:23], v[246:247], v[156:159]// 000000005EB4: D3F3009C 0E73ED16
	buffer_load_dword v7, s[28:31], 0 offen lds                // 000000005EBC: E0511000 80070007
	s_add_u32 m0, 0, s51                                       // 000000005EC4: 807C3380
	buffer_load_dword v24, v13, s[32:35], 0 offen              // 000000005EC8: E0501000 8008180D
	v_mul_f32_dpp v50, v23, v19 row_newbcast:0 row_mask:0xf bank_mask:0xf// 000000005ED0: 0A6426FA FF015017
	v_mov_b32_e32 v51, v50                                     // 000000005ED8: 7E660332
	v_pk_fma_f32 v[128:129], v[144:145], v[50:51], v[128:129]  // 000000005EDC: D3B04080 1E026590
	v_pk_fma_f32 v[130:131], v[146:147], v[50:51], v[130:131]  // 000000005EE4: D3B04082 1E0A6592
	v_pk_fma_f32 v[136:137], v[152:153], v[50:51], v[136:137]  // 000000005EEC: D3B04088 1E226598
	v_pk_fma_f32 v[138:139], v[154:155], v[50:51], v[138:139]  // 000000005EF4: D3B0408A 1E2A659A
	v_mul_f32_dpp v50, v23, v20 row_newbcast:0 row_mask:0xf bank_mask:0xf// 000000005EFC: 0A6428FA FF015017
	v_mov_b32_e32 v51, v50                                     // 000000005F04: 7E660332
	v_pk_fma_f32 v[132:133], v[148:149], v[50:51], v[132:133]  // 000000005F08: D3B04084 1E126594
	v_pk_fma_f32 v[134:135], v[150:151], v[50:51], v[134:135]  // 000000005F10: D3B04086 1E1A6596
	v_pk_fma_f32 v[140:141], v[156:157], v[50:51], v[140:141]  // 000000005F18: D3B0408C 1E32659C
	v_pk_fma_f32 v[142:143], v[158:159], v[50:51], v[142:143]  // 000000005F20: D3B0408E 1E3A659E
	v_mfma_f32_16x16x32_fp8_fp8 v[144:147], a[8:9], v[232:233], 0// 000000005F28: D3F30090 0A03D108
	buffer_load_dwordx4 a[40:43], v40, s[92:95], 0 offen offset:2048// 000000005F30: E05C1800 80972828
	v_mfma_f32_16x16x32_fp8_fp8 v[144:147], a[10:11], v[234:235], v[144:147]// 000000005F38: D3F30090 0E43D50A
	v_mfma_f32_16x16x32_fp8_fp8 v[144:147], a[12:13], v[236:237], v[144:147]// 000000005F40: D3F30090 0E43D90C
	v_mfma_f32_16x16x32_fp8_fp8 v[144:147], a[14:15], v[238:239], v[144:147]// 000000005F48: D3F30090 0E43DD0E
	v_mfma_f32_16x16x32_fp8_fp8 v[148:151], a[8:9], v[248:249], 0// 000000005F50: D3F30094 0A03F108
	buffer_load_dwordx4 a[44:47], v40, s[92:95], 0 offen offset:3072// 000000005F58: E05C1C00 80972C28
	v_mfma_f32_16x16x32_fp8_fp8 v[148:151], a[10:11], v[250:251], v[148:151]// 000000005F60: D3F30094 0E53F50A
	v_mfma_f32_16x16x32_fp8_fp8 v[148:151], a[12:13], v[252:253], v[148:151]// 000000005F68: D3F30094 0E53F90C
	v_mfma_f32_16x16x32_fp8_fp8 v[148:151], a[14:15], v[254:255], v[148:151]// 000000005F70: D3F30094 0E53FD0E
	v_mfma_f32_16x16x32_fp8_fp8 v[152:155], a[24:25], v[232:233], 0// 000000005F78: D3F30098 0A03D118
	buffer_load_dwordx4 a[56:59], v41, s[92:95], 0 offen offset:2048// 000000005F80: E05C1800 80973829
	v_mfma_f32_16x16x32_fp8_fp8 v[152:155], a[26:27], v[234:235], v[152:155]// 000000005F88: D3F30098 0E63D51A
	v_mfma_f32_16x16x32_fp8_fp8 v[152:155], a[28:29], v[236:237], v[152:155]// 000000005F90: D3F30098 0E63D91C
	v_mfma_f32_16x16x32_fp8_fp8 v[152:155], a[30:31], v[238:239], v[152:155]// 000000005F98: D3F30098 0E63DD1E
	v_mfma_f32_16x16x32_fp8_fp8 v[156:159], a[24:25], v[248:249], 0// 000000005FA0: D3F3009C 0A03F118
	buffer_load_dwordx4 a[60:63], v41, s[92:95], 0 offen offset:3072// 000000005FA8: E05C1C00 80973C29
	v_mfma_f32_16x16x32_fp8_fp8 v[156:159], a[26:27], v[250:251], v[156:159]// 000000005FB0: D3F3009C 0E73F51A
	v_mfma_f32_16x16x32_fp8_fp8 v[156:159], a[28:29], v[252:253], v[156:159]// 000000005FB8: D3F3009C 0E73F91C
	v_mfma_f32_16x16x32_fp8_fp8 v[156:159], a[30:31], v[254:255], v[156:159]// 000000005FC0: D3F3009C 0E73FD1E
	v_mul_f32_dpp v50, v23, v21 row_newbcast:2 row_mask:0xf bank_mask:0xf// 000000005FC8: 0A642AFA FF015217
	v_mov_b32_e32 v51, v50                                     // 000000005FD0: 7E660332
	v_pk_fma_f32 v[128:129], v[144:145], v[50:51], v[128:129]  // 000000005FD4: D3B04080 1E026590
	v_pk_fma_f32 v[130:131], v[146:147], v[50:51], v[130:131]  // 000000005FDC: D3B04082 1E0A6592
	v_pk_fma_f32 v[136:137], v[152:153], v[50:51], v[136:137]  // 000000005FE4: D3B04088 1E226598
	v_pk_fma_f32 v[138:139], v[154:155], v[50:51], v[138:139]  // 000000005FEC: D3B0408A 1E2A659A
	v_mul_f32_dpp v50, v23, v22 row_newbcast:2 row_mask:0xf bank_mask:0xf// 000000005FF4: 0A642CFA FF015217
	v_mov_b32_e32 v51, v50                                     // 000000005FFC: 7E660332
	v_pk_fma_f32 v[132:133], v[148:149], v[50:51], v[132:133]  // 000000006000: D3B04084 1E126594
	v_pk_fma_f32 v[134:135], v[150:151], v[50:51], v[134:135]  // 000000006008: D3B04086 1E1A6596
	v_pk_fma_f32 v[140:141], v[156:157], v[50:51], v[140:141]  // 000000006010: D3B0408C 1E32659C
	v_pk_fma_f32 v[142:143], v[158:159], v[50:51], v[142:143]  // 000000006018: D3B0408E 1E3A659E
	s_add_u32 s60, 0x100, s80                                  // 000000006020: 803C50FF 00000100
	s_cmp_lt_u32 s60, s81                                      // 000000006028: BF0A513C
	s_cselect_b32 s4, s4, 0                                    // 00000000602C: 85048004
	s_add_u32 s32, s4, s32                                     // 000000006030: 80202004
	s_addc_u32 s33, 0, s33                                     // 000000006034: 82212180
	s_waitcnt vmcnt(0)                                         // 000000006038: BF8C0F70
	s_barrier                                                  // 00000000603C: BF8A0000
	v_mfma_f32_16x16x32_fp8_fp8 v[80:83], a[32:33], v[224:225], 0// 000000006040: D3F30050 0A03C120
	buffer_load_dwordx4 a[0:3], v40, s[24:27], 0 offen         // 000000006048: E05C1000 80860028
	v_mfma_f32_16x16x32_fp8_fp8 v[80:83], a[34:35], v[226:227], v[80:83]// 000000006050: D3F30050 0D43C522
	v_mfma_f32_16x16x32_fp8_fp8 v[80:83], a[36:37], v[228:229], v[80:83]// 000000006058: D3F30050 0D43C924
	buffer_load_dword v23, v11, s[32:35], 0 offen              // 000000006060: E0501000 8008170B
	ds_read_b128 v[192:195], v2                                // 000000006068: D9FE0000 C0000002
	ds_read_b32 v15, v3 offset:8320                            // 000000006070: D86C2080 0F000003
	v_mfma_f32_16x16x32_fp8_fp8 v[80:83], a[38:39], v[230:231], v[80:83]// 000000006078: D3F30050 0D43CD26
	v_mfma_f32_16x16x32_fp8_fp8 v[84:87], a[32:33], v[240:241], 0// 000000006080: D3F30054 0A03E120
	buffer_load_dwordx4 a[4:7], v40, s[24:27], 0 offen offset:1024// 000000006088: E05C1400 80860428
	v_mfma_f32_16x16x32_fp8_fp8 v[84:87], a[34:35], v[242:243], v[84:87]// 000000006090: D3F30054 0D53E522
	v_mfma_f32_16x16x32_fp8_fp8 v[84:87], a[36:37], v[244:245], v[84:87]// 000000006098: D3F30054 0D53E924
	ds_read_b128 v[196:199], v2 offset:64                      // 0000000060A0: D9FE0040 C4000002
	ds_read_b32 v16, v3 offset:8576                            // 0000000060A8: D86C2180 10000003
	v_mfma_f32_16x16x32_fp8_fp8 v[84:87], a[38:39], v[246:247], v[84:87]// 0000000060B0: D3F30054 0D53ED26
	v_mfma_f32_16x16x32_fp8_fp8 v[88:91], a[48:49], v[224:225], 0// 0000000060B8: D3F30058 0A03C130
	buffer_load_dwordx4 a[16:19], v41, s[24:27], 0 offen       // 0000000060C0: E05C1000 80861029
	v_mfma_f32_16x16x32_fp8_fp8 v[88:91], a[50:51], v[226:227], v[88:91]// 0000000060C8: D3F30058 0D63C532
	v_mfma_f32_16x16x32_fp8_fp8 v[88:91], a[52:53], v[228:229], v[88:91]// 0000000060D0: D3F30058 0D63C934
	ds_read_b128 v[200:203], v2 offset:128                     // 0000000060D8: D9FE0080 C8000002
	ds_read_b32 v17, v3 offset:8832                            // 0000000060E0: D86C2280 11000003
	v_mfma_f32_16x16x32_fp8_fp8 v[88:91], a[54:55], v[230:231], v[88:91]// 0000000060E8: D3F30058 0D63CD36
	v_mfma_f32_16x16x32_fp8_fp8 v[92:95], a[48:49], v[240:241], 0// 0000000060F0: D3F3005C 0A03E130
	buffer_load_dwordx4 a[20:23], v41, s[24:27], 0 offen offset:1024// 0000000060F8: E05C1400 80861429
	v_mfma_f32_16x16x32_fp8_fp8 v[92:95], a[50:51], v[242:243], v[92:95]// 000000006100: D3F3005C 0D73E532
	v_mfma_f32_16x16x32_fp8_fp8 v[92:95], a[52:53], v[244:245], v[92:95]// 000000006108: D3F3005C 0D73E934
	ds_read_b128 v[204:207], v2 offset:192                     // 000000006110: D9FE00C0 CC000002
	ds_read_b32 v18, v3 offset:9088                            // 000000006118: D86C2380 12000003
	v_mfma_f32_16x16x32_fp8_fp8 v[92:95], a[54:55], v[246:247], v[92:95]// 000000006120: D3F3005C 0D73ED36
	v_mul_f32_dpp v50, v24, v19 row_newbcast:0 row_mask:0xf bank_mask:0xf// 000000006128: 0A6426FA FF015018
	v_mov_b32_e32 v51, v50                                     // 000000006130: 7E660332
	v_pk_fma_f32 v[64:65], v[80:81], v[50:51], v[64:65]        // 000000006134: D3B04040 1D026550
	v_pk_fma_f32 v[66:67], v[82:83], v[50:51], v[66:67]        // 00000000613C: D3B04042 1D0A6552
	v_pk_fma_f32 v[72:73], v[88:89], v[50:51], v[72:73]        // 000000006144: D3B04048 1D226558
	v_pk_fma_f32 v[74:75], v[90:91], v[50:51], v[74:75]        // 00000000614C: D3B0404A 1D2A655A
	v_mul_f32_dpp v50, v24, v20 row_newbcast:0 row_mask:0xf bank_mask:0xf// 000000006154: 0A6428FA FF015018
	v_mov_b32_e32 v51, v50                                     // 00000000615C: 7E660332
	v_pk_fma_f32 v[68:69], v[84:85], v[50:51], v[68:69]        // 000000006160: D3B04044 1D126554
	v_pk_fma_f32 v[70:71], v[86:87], v[50:51], v[70:71]        // 000000006168: D3B04046 1D1A6556
	v_pk_fma_f32 v[76:77], v[92:93], v[50:51], v[76:77]        // 000000006170: D3B0404C 1D32655C
	v_pk_fma_f32 v[78:79], v[94:95], v[50:51], v[78:79]        // 000000006178: D3B0404E 1D3A655E
	v_mfma_f32_16x16x32_fp8_fp8 v[80:83], a[40:41], v[232:233], 0// 000000006180: D3F30050 0A03D128
	buffer_load_dwordx4 a[8:11], v40, s[24:27], 0 offen offset:2048// 000000006188: E05C1800 80860828
	v_mfma_f32_16x16x32_fp8_fp8 v[80:83], a[42:43], v[234:235], v[80:83]// 000000006190: D3F30050 0D43D52A
	v_mfma_f32_16x16x32_fp8_fp8 v[80:83], a[44:45], v[236:237], v[80:83]// 000000006198: D3F30050 0D43D92C
	ds_read_b128 v[208:211], v2 offset:1024                    // 0000000061A0: D9FE0400 D0000002
	v_mfma_f32_16x16x32_fp8_fp8 v[80:83], a[46:47], v[238:239], v[80:83]// 0000000061A8: D3F30050 0D43DD2E
	v_mfma_f32_16x16x32_fp8_fp8 v[84:87], a[40:41], v[248:249], 0// 0000000061B0: D3F30054 0A03F128
	buffer_load_dwordx4 a[12:15], v40, s[24:27], 0 offen offset:3072// 0000000061B8: E05C1C00 80860C28
	v_mfma_f32_16x16x32_fp8_fp8 v[84:87], a[42:43], v[250:251], v[84:87]// 0000000061C0: D3F30054 0D53F52A
	v_mfma_f32_16x16x32_fp8_fp8 v[84:87], a[44:45], v[252:253], v[84:87]// 0000000061C8: D3F30054 0D53F92C
	ds_read_b128 v[212:215], v2 offset:1088                    // 0000000061D0: D9FE0440 D4000002
	v_mfma_f32_16x16x32_fp8_fp8 v[84:87], a[46:47], v[254:255], v[84:87]// 0000000061D8: D3F30054 0D53FD2E
	v_mfma_f32_16x16x32_fp8_fp8 v[88:91], a[56:57], v[232:233], 0// 0000000061E0: D3F30058 0A03D138
	buffer_load_dwordx4 a[24:27], v41, s[24:27], 0 offen offset:2048// 0000000061E8: E05C1800 80861829
	v_mfma_f32_16x16x32_fp8_fp8 v[88:91], a[58:59], v[234:235], v[88:91]// 0000000061F0: D3F30058 0D63D53A
	v_mfma_f32_16x16x32_fp8_fp8 v[88:91], a[60:61], v[236:237], v[88:91]// 0000000061F8: D3F30058 0D63D93C
	ds_read_b128 v[216:219], v2 offset:1152                    // 000000006200: D9FE0480 D8000002
	v_mfma_f32_16x16x32_fp8_fp8 v[88:91], a[62:63], v[238:239], v[88:91]// 000000006208: D3F30058 0D63DD3E
	v_mfma_f32_16x16x32_fp8_fp8 v[92:95], a[56:57], v[248:249], 0// 000000006210: D3F3005C 0A03F138
	buffer_load_dwordx4 a[28:31], v41, s[24:27], 0 offen offset:3072// 000000006218: E05C1C00 80861C29
	v_mfma_f32_16x16x32_fp8_fp8 v[92:95], a[58:59], v[250:251], v[92:95]// 000000006220: D3F3005C 0D73F53A
	v_mfma_f32_16x16x32_fp8_fp8 v[92:95], a[60:61], v[252:253], v[92:95]// 000000006228: D3F3005C 0D73F93C
	ds_read_b128 v[220:223], v2 offset:1216                    // 000000006230: D9FE04C0 DC000002
	v_mfma_f32_16x16x32_fp8_fp8 v[92:95], a[62:63], v[254:255], v[92:95]// 000000006238: D3F3005C 0D73FD3E
	v_mul_f32_dpp v50, v24, v21 row_newbcast:2 row_mask:0xf bank_mask:0xf// 000000006240: 0A642AFA FF015218
	v_mov_b32_e32 v51, v50                                     // 000000006248: 7E660332
	v_pk_fma_f32 v[64:65], v[80:81], v[50:51], v[64:65]        // 00000000624C: D3B04040 1D026550
	v_pk_fma_f32 v[66:67], v[82:83], v[50:51], v[66:67]        // 000000006254: D3B04042 1D0A6552
	v_pk_fma_f32 v[72:73], v[88:89], v[50:51], v[72:73]        // 00000000625C: D3B04048 1D226558
	v_pk_fma_f32 v[74:75], v[90:91], v[50:51], v[74:75]        // 000000006264: D3B0404A 1D2A655A
	v_mul_f32_dpp v50, v24, v22 row_newbcast:2 row_mask:0xf bank_mask:0xf// 00000000626C: 0A642CFA FF015218
	v_mov_b32_e32 v51, v50                                     // 000000006274: 7E660332
	v_pk_fma_f32 v[68:69], v[84:85], v[50:51], v[68:69]        // 000000006278: D3B04044 1D126554
	v_pk_fma_f32 v[70:71], v[86:87], v[50:51], v[70:71]        // 000000006280: D3B04046 1D1A6556
	v_pk_fma_f32 v[76:77], v[92:93], v[50:51], v[76:77]        // 000000006288: D3B0404C 1D32655C
	v_pk_fma_f32 v[78:79], v[94:95], v[50:51], v[78:79]        // 000000006290: D3B0404E 1D3A655E
	s_add_u32 s60, 0x200, s80                                  // 000000006298: 803C50FF 00000200
	s_cmp_lt_u32 s60, s81                                      // 0000000062A0: BF0A513C
	s_cselect_b32 s57, s57, 0                                  // 0000000062A4: 85398039
	s_cselect_b32 s3, s3, 0                                    // 0000000062A8: 85038003
	s_add_u32 s60, 0x200, s80                                  // 0000000062AC: 803C50FF 00000200
	s_cmp_lt_u32 s60, s81                                      // 0000000062B4: BF0A513C
	s_cselect_b32 s58, s58, 0                                  // 0000000062B8: 853A803A
	s_add_u32 s20, s57, s20                                    // 0000000062BC: 80141439
	s_addc_u32 s21, 0, s21                                     // 0000000062C0: 82151580
	s_add_u32 s28, s3, s28                                     // 0000000062C4: 801C1C03
	s_addc_u32 s29, 0, s29                                     // 0000000062C8: 821D1D80
	s_add_u32 s24, s58, s24                                    // 0000000062CC: 8018183A
	s_addc_u32 s25, 0, s25                                     // 0000000062D0: 82191980
	s_add_u32 s92, s90, s92                                    // 0000000062D4: 805C5C5A
	s_addc_u32 s93, 0, s93                                     // 0000000062D8: 825D5D80
	s_addk_i32 s80, 0x100                                      // 0000000062DC: B7500100
	s_cmp_lt_i32 s80, s81                                      // 0000000062E0: BF045150
	s_cbranch_scc0 label_0D3B                                  // 0000000062E4: BF840001
	s_branch label_0A92                                        // 0000000062E8: BF82FD57

00000000000062ec <label_0D3B>:
	s_mov_b32 s36, -1                                          // 0000000062EC: BEA400C1
	s_mov_b32 s37, -1                                          // 0000000062F0: BEA500C1
	s_mov_b64 s[60:61], 0                                      // 0000000062F4: BEBC0180
	s_cmp_lt_u32 s82, s66                                      // 0000000062F8: BF0A4252
	s_cselect_b64 s[20:21], s[36:37], s[60:61]                 // 0000000062FC: 85943C24
	s_cmp_lt_u32 s83, s66                                      // 000000006300: BF0A4253
	s_cselect_b64 s[22:23], s[36:37], s[60:61]                 // 000000006304: 85963C24
	s_cmp_lt_u32 s84, s66                                      // 000000006308: BF0A4254
	s_cselect_b64 s[24:25], s[36:37], s[60:61]                 // 00000000630C: 85983C24
	s_cmp_lt_u32 s85, s66                                      // 000000006310: BF0A4255
	s_cselect_b64 s[26:27], s[36:37], s[60:61]                 // 000000006314: 859A3C24
	s_cmp_lt_u32 s86, s66                                      // 000000006318: BF0A4256
	s_cselect_b64 s[28:29], s[36:37], s[60:61]                 // 00000000631C: 859C3C24
	s_cmp_lt_u32 s87, s66                                      // 000000006320: BF0A4257
	s_cselect_b64 s[30:31], s[36:37], s[60:61]                 // 000000006324: 859E3C24
	s_cmp_lt_u32 s88, s66                                      // 000000006328: BF0A4258
	s_cselect_b64 s[32:33], s[36:37], s[60:61]                 // 00000000632C: 85A03C24
	s_cmp_lt_u32 s89, s66                                      // 000000006330: BF0A4259
	s_cselect_b64 s[34:35], s[36:37], s[60:61]                 // 000000006334: 85A23C24
	s_waitcnt vmcnt(4)                                         // 000000006338: BF8C0F74
	buffer_load_dwordx4 a[0:3], v42, s[12:15], 0 offen         // 00000000633C: E05C1000 8083002A
	v_mul_f32_e64 v50, -v128, s6                               // 000000006344: D1050032 20000D80
	v_mul_f32_e64 v51, -v129, s6                               // 00000000634C: D1050033 20000D81
	v_mul_f32_e64 v52, -v130, s6                               // 000000006354: D1050034 20000D82
	v_mul_f32_e64 v53, -v131, s6                               // 00000000635C: D1050035 20000D83
	v_exp_f32_e32 v50, v50                                     // 000000006364: 7E644132
	v_exp_f32_e32 v51, v51                                     // 000000006368: 7E664133
	v_exp_f32_e32 v52, v52                                     // 00000000636C: 7E684134
	v_exp_f32_e32 v53, v53                                     // 000000006370: 7E6A4135
	buffer_load_dwordx4 a[4:7], v43, s[12:15], 0 offen         // 000000006374: E05C1000 8083042B
	v_add_f32_e64 v50, v50, 1.0                                // 00000000637C: D1010032 0001E532
	v_add_f32_e64 v51, v51, 1.0                                // 000000006384: D1010033 0001E533
	v_add_f32_e64 v52, v52, 1.0                                // 00000000638C: D1010034 0001E534
	v_add_f32_e64 v53, v53, 1.0                                // 000000006394: D1010035 0001E535
	v_rcp_f32_e32 v50, v50                                     // 00000000639C: 7E644532
	v_rcp_f32_e32 v51, v51                                     // 0000000063A0: 7E664533
	v_rcp_f32_e32 v52, v52                                     // 0000000063A4: 7E684534
	v_rcp_f32_e32 v53, v53                                     // 0000000063A8: 7E6A4535
	v_mul_f32_e32 v128, v128, v50                              // 0000000063AC: 0B006580
	v_mul_f32_e32 v129, v129, v51                              // 0000000063B0: 0B026781
	v_mul_f32_e32 v130, v130, v52                              // 0000000063B4: 0B046982
	v_mul_f32_e32 v131, v131, v53                              // 0000000063B8: 0B066B83
	v_mul_f32_e32 v128, v128, v64                              // 0000000063BC: 0B008180
	v_mul_f32_e32 v129, v129, v65                              // 0000000063C0: 0B028381
	v_mul_f32_e32 v130, v130, v66                              // 0000000063C4: 0B048582
	v_mul_f32_e32 v131, v131, v67                              // 0000000063C8: 0B068783
	buffer_load_dwordx4 a[8:11], v44, s[12:15], 0 offen        // 0000000063CC: E05C1000 8083082C
	v_mul_f32_e64 v50, -v132, s6                               // 0000000063D4: D1050032 20000D84
	v_mul_f32_e64 v51, -v133, s6                               // 0000000063DC: D1050033 20000D85
	v_mul_f32_e64 v52, -v134, s6                               // 0000000063E4: D1050034 20000D86
	v_mul_f32_e64 v53, -v135, s6                               // 0000000063EC: D1050035 20000D87
	v_exp_f32_e32 v50, v50                                     // 0000000063F4: 7E644132
	v_exp_f32_e32 v51, v51                                     // 0000000063F8: 7E664133
	v_exp_f32_e32 v52, v52                                     // 0000000063FC: 7E684134
	v_exp_f32_e32 v53, v53                                     // 000000006400: 7E6A4135
	buffer_load_dwordx4 a[12:15], v45, s[12:15], 0 offen       // 000000006404: E05C1000 80830C2D
	s_add_u32 s12, s78, s12                                    // 00000000640C: 800C0C4E
	s_addc_u32 s13, 0, s13                                     // 000000006410: 820D0D80
	v_add_f32_e64 v50, v50, 1.0                                // 000000006414: D1010032 0001E532
	v_add_f32_e64 v51, v51, 1.0                                // 00000000641C: D1010033 0001E533
	v_add_f32_e64 v52, v52, 1.0                                // 000000006424: D1010034 0001E534
	v_add_f32_e64 v53, v53, 1.0                                // 00000000642C: D1010035 0001E535
	v_rcp_f32_e32 v50, v50                                     // 000000006434: 7E644532
	v_rcp_f32_e32 v51, v51                                     // 000000006438: 7E664533
	v_rcp_f32_e32 v52, v52                                     // 00000000643C: 7E684534
	v_rcp_f32_e32 v53, v53                                     // 000000006440: 7E6A4535
	v_mul_f32_e32 v132, v132, v50                              // 000000006444: 0B086584
	v_mul_f32_e32 v133, v133, v51                              // 000000006448: 0B0A6785
	v_mul_f32_e32 v134, v134, v52                              // 00000000644C: 0B0C6986
	v_mul_f32_e32 v135, v135, v53                              // 000000006450: 0B0E6B87
	v_mul_f32_e32 v132, v132, v68                              // 000000006454: 0B088984
	v_mul_f32_e32 v133, v133, v69                              // 000000006458: 0B0A8B85
	v_mul_f32_e32 v134, v134, v70                              // 00000000645C: 0B0C8D86
	v_mul_f32_e32 v135, v135, v71                              // 000000006460: 0B0E8F87
	s_waitcnt vmcnt(4)                                         // 000000006464: BF8C0F74
	buffer_load_dwordx4 a[16:19], v42, s[12:15], 0 offen       // 000000006468: E05C1000 8083102A
	v_mul_f32_e64 v50, -v136, s6                               // 000000006470: D1050032 20000D88
	v_mul_f32_e64 v51, -v137, s6                               // 000000006478: D1050033 20000D89
	v_mul_f32_e64 v52, -v138, s6                               // 000000006480: D1050034 20000D8A
	v_mul_f32_e64 v53, -v139, s6                               // 000000006488: D1050035 20000D8B
	v_exp_f32_e32 v50, v50                                     // 000000006490: 7E644132
	v_exp_f32_e32 v51, v51                                     // 000000006494: 7E664133
	v_exp_f32_e32 v52, v52                                     // 000000006498: 7E684134
	v_exp_f32_e32 v53, v53                                     // 00000000649C: 7E6A4135
	buffer_load_dwordx4 a[20:23], v43, s[12:15], 0 offen       // 0000000064A0: E05C1000 8083142B
	v_add_f32_e64 v50, v50, 1.0                                // 0000000064A8: D1010032 0001E532
	v_add_f32_e64 v51, v51, 1.0                                // 0000000064B0: D1010033 0001E533
	v_add_f32_e64 v52, v52, 1.0                                // 0000000064B8: D1010034 0001E534
	v_add_f32_e64 v53, v53, 1.0                                // 0000000064C0: D1010035 0001E535
	v_rcp_f32_e32 v50, v50                                     // 0000000064C8: 7E644532
	v_rcp_f32_e32 v51, v51                                     // 0000000064CC: 7E664533
	v_rcp_f32_e32 v52, v52                                     // 0000000064D0: 7E684534
	v_rcp_f32_e32 v53, v53                                     // 0000000064D4: 7E6A4535
	v_mul_f32_e32 v136, v136, v50                              // 0000000064D8: 0B106588
	v_mul_f32_e32 v137, v137, v51                              // 0000000064DC: 0B126789
	v_mul_f32_e32 v138, v138, v52                              // 0000000064E0: 0B14698A
	v_mul_f32_e32 v139, v139, v53                              // 0000000064E4: 0B166B8B
	v_mul_f32_e32 v136, v136, v72                              // 0000000064E8: 0B109188
	v_mul_f32_e32 v137, v137, v73                              // 0000000064EC: 0B129389
	v_mul_f32_e32 v138, v138, v74                              // 0000000064F0: 0B14958A
	v_mul_f32_e32 v139, v139, v75                              // 0000000064F4: 0B16978B
	buffer_load_dwordx4 a[24:27], v44, s[12:15], 0 offen       // 0000000064F8: E05C1000 8083182C
	v_mul_f32_e64 v50, -v140, s6                               // 000000006500: D1050032 20000D8C
	v_mul_f32_e64 v51, -v141, s6                               // 000000006508: D1050033 20000D8D
	v_mul_f32_e64 v52, -v142, s6                               // 000000006510: D1050034 20000D8E
	v_mul_f32_e64 v53, -v143, s6                               // 000000006518: D1050035 20000D8F
	v_exp_f32_e32 v50, v50                                     // 000000006520: 7E644132
	v_exp_f32_e32 v51, v51                                     // 000000006524: 7E664133
	v_exp_f32_e32 v52, v52                                     // 000000006528: 7E684134
	v_exp_f32_e32 v53, v53                                     // 00000000652C: 7E6A4135
	buffer_load_dwordx4 a[28:31], v45, s[12:15], 0 offen       // 000000006530: E05C1000 80831C2D
	v_add_f32_e64 v50, v50, 1.0                                // 000000006538: D1010032 0001E532
	v_add_f32_e64 v51, v51, 1.0                                // 000000006540: D1010033 0001E533
	v_add_f32_e64 v52, v52, 1.0                                // 000000006548: D1010034 0001E534
	v_add_f32_e64 v53, v53, 1.0                                // 000000006550: D1010035 0001E535
	v_rcp_f32_e32 v50, v50                                     // 000000006558: 7E644532
	v_rcp_f32_e32 v51, v51                                     // 00000000655C: 7E664533
	v_rcp_f32_e32 v52, v52                                     // 000000006560: 7E684534
	v_rcp_f32_e32 v53, v53                                     // 000000006564: 7E6A4535
	v_mul_f32_e32 v140, v140, v50                              // 000000006568: 0B18658C
	v_mul_f32_e32 v141, v141, v51                              // 00000000656C: 0B1A678D
	v_mul_f32_e32 v142, v142, v52                              // 000000006570: 0B1C698E
	v_mul_f32_e32 v143, v143, v53                              // 000000006574: 0B1E6B8F
	v_mul_f32_e32 v140, v140, v76                              // 000000006578: 0B18998C
	v_mul_f32_e32 v141, v141, v77                              // 00000000657C: 0B1A9B8D
	v_mul_f32_e32 v142, v142, v78                              // 000000006580: 0B1C9D8E
	v_mul_f32_e32 v143, v143, v79                              // 000000006584: 0B1E9F8F
	v_lshlrev_b32_e32 v50, 2, v0                               // 000000006588: 24640082
	s_mul_i32 s60, s82, s71                                    // 00000000658C: 923C4752
	v_add_u32_e64 v80, v50, s60                                // 000000006590: D1340050 00007932
	v_mov_b32_e32 v81, 0                                       // 000000006598: 7EA20280
	s_mul_i32 s60, s83, s71                                    // 00000000659C: 923C4753
	v_add_u32_e64 v82, v50, s60                                // 0000000065A0: D1340052 00007932
	v_mov_b32_e32 v83, 0                                       // 0000000065A8: 7EA60280
	s_mul_i32 s60, s84, s71                                    // 0000000065AC: 923C4754
	v_add_u32_e64 v84, v50, s60                                // 0000000065B0: D1340054 00007932
	v_mov_b32_e32 v85, 0                                       // 0000000065B8: 7EAA0280
	s_mul_i32 s60, s85, s71                                    // 0000000065BC: 923C4755
	v_add_u32_e64 v86, v50, s60                                // 0000000065C0: D1340056 00007932
	v_mov_b32_e32 v87, 0                                       // 0000000065C8: 7EAE0280
	s_mul_i32 s60, s86, s71                                    // 0000000065CC: 923C4756
	v_add_u32_e64 v88, v50, s60                                // 0000000065D0: D1340058 00007932
	v_mov_b32_e32 v89, 0                                       // 0000000065D8: 7EB20280
	s_mul_i32 s60, s87, s71                                    // 0000000065DC: 923C4757
	v_add_u32_e64 v90, v50, s60                                // 0000000065E0: D134005A 00007932
	v_mov_b32_e32 v91, 0                                       // 0000000065E8: 7EB60280
	s_mul_i32 s60, s88, s71                                    // 0000000065EC: 923C4758
	v_add_u32_e64 v92, v50, s60                                // 0000000065F0: D134005C 00007932
	v_mov_b32_e32 v93, 0                                       // 0000000065F8: 7EBA0280
	s_mul_i32 s60, s89, s71                                    // 0000000065FC: 923C4759
	v_add_u32_e64 v94, v50, s60                                // 000000006600: D134005E 00007932
	v_mov_b32_e32 v95, 0                                       // 000000006608: 7EBE0280
	buffer_load_dword v23, v6, s[16:19], 0 offen               // 00000000660C: E0501000 80041706
	v_mov_b32_e32 v28, 0x358637bd                              // 000000006614: 7E3802FF 358637BD
	v_mov_b32_e32 v29, 0x358637bd                              // 00000000661C: 7E3A02FF 358637BD
	v_max3_f32 v28, |v128|, |v129|, v28                        // 000000006624: D1D3031C 04730380
	v_max3_f32 v28, |v130|, |v131|, v28                        // 00000000662C: D1D3031C 04730782
	v_max3_f32 v29, |v132|, |v133|, v29                        // 000000006634: D1D3031D 04770B84
	v_max3_f32 v29, |v134|, |v135|, v29                        // 00000000663C: D1D3031D 04770F86
	v_max3_f32 v28, |v136|, |v137|, v28                        // 000000006644: D1D3031C 04731388
	v_max3_f32 v28, |v138|, |v139|, v28                        // 00000000664C: D1D3031C 0473178A
	v_max3_f32 v29, |v140|, |v141|, v29                        // 000000006654: D1D3031D 04771B8C
	v_max3_f32 v29, |v142|, |v143|, v29                        // 00000000665C: D1D3031D 04771F8E
	v_lshlrev_b32_e32 v50, 3, v0                               // 000000006664: 24640083
	s_mul_i32 s60, 0x200, s7                                   // 000000006668: 923C07FF 00000200
	v_add_u32_e32 v50, s60, v50                                // 000000006670: 6864643C
	ds_write_b64 v50, v[28:29] offset:18688                    // 000000006674: D89A4900 00001C32
	s_waitcnt lgkmcnt(0)                                       // 00000000667C: BF8CC07F
	s_barrier                                                  // 000000006680: BF8A0000
	v_and_b32_e32 v50, 15, v0                                  // 000000006684: 2664008F
	v_lshlrev_b32_e32 v50, 3, v50                              // 000000006688: 24646483
	ds_read_b64 v[96:97], v50 offset:18688                     // 00000000668C: D8EC4900 60000032
	ds_read_b64 v[98:99], v50 offset:18816                     // 000000006694: D8EC4980 62000032
	ds_read_b64 v[100:101], v50 offset:18944                   // 00000000669C: D8EC4A00 64000032
	ds_read_b64 v[102:103], v50 offset:19072                   // 0000000066A4: D8EC4A80 66000032
	ds_read_b64 v[104:105], v50 offset:19200                   // 0000000066AC: D8EC4B00 68000032
	ds_read_b64 v[106:107], v50 offset:19328                   // 0000000066B4: D8EC4B80 6A000032
	ds_read_b64 v[108:109], v50 offset:19456                   // 0000000066BC: D8EC4C00 6C000032
	ds_read_b64 v[110:111], v50 offset:19584                   // 0000000066C4: D8EC4C80 6E000032
	ds_read_b64 v[112:113], v50 offset:19712                   // 0000000066CC: D8EC4D00 70000032
	ds_read_b64 v[114:115], v50 offset:19840                   // 0000000066D4: D8EC4D80 72000032
	ds_read_b64 v[116:117], v50 offset:19968                   // 0000000066DC: D8EC4E00 74000032
	ds_read_b64 v[118:119], v50 offset:20096                   // 0000000066E4: D8EC4E80 76000032
	ds_read_b64 v[120:121], v50 offset:20224                   // 0000000066EC: D8EC4F00 78000032
	ds_read_b64 v[122:123], v50 offset:20352                   // 0000000066F4: D8EC4F80 7A000032
	ds_read_b64 v[124:125], v50 offset:20480                   // 0000000066FC: D8EC5000 7C000032
	ds_read_b64 v[126:127], v50 offset:20608                   // 000000006704: D8EC5080 7E000032
	s_waitcnt lgkmcnt(0)                                       // 00000000670C: BF8CC07F
	v_max3_f32 v28, |v96|, |v98|, v28                          // 000000006710: D1D3031C 0472C560
	v_max3_f32 v29, |v97|, |v99|, v29                          // 000000006718: D1D3031D 0476C761
	v_max3_f32 v28, |v100|, |v102|, v28                        // 000000006720: D1D3031C 0472CD64
	v_max3_f32 v29, |v101|, |v103|, v29                        // 000000006728: D1D3031D 0476CF65
	v_max3_f32 v28, |v104|, |v106|, v28                        // 000000006730: D1D3031C 0472D568
	v_max3_f32 v29, |v105|, |v107|, v29                        // 000000006738: D1D3031D 0476D769
	v_max3_f32 v28, |v108|, |v110|, v28                        // 000000006740: D1D3031C 0472DD6C
	v_max3_f32 v29, |v109|, |v111|, v29                        // 000000006748: D1D3031D 0476DF6D
	v_max3_f32 v28, |v112|, |v114|, v28                        // 000000006750: D1D3031C 0472E570
	v_max3_f32 v29, |v113|, |v115|, v29                        // 000000006758: D1D3031D 0476E771
	v_max3_f32 v28, |v116|, |v118|, v28                        // 000000006760: D1D3031C 0472ED74
	v_max3_f32 v29, |v117|, |v119|, v29                        // 000000006768: D1D3031D 0476EF75
	v_max3_f32 v28, |v120|, |v122|, v28                        // 000000006770: D1D3031C 0472F578
	v_max3_f32 v29, |v121|, |v123|, v29                        // 000000006778: D1D3031D 0476F779
	v_max3_f32 v28, |v124|, |v126|, v28                        // 000000006780: D1D3031C 0472FD7C
	v_max3_f32 v29, |v125|, |v127|, v29                        // 000000006788: D1D3031D 0476FF7D
	v_rcp_f32_e32 v28, v28                                     // 000000006790: 7E38451C
	v_rcp_f32_e32 v29, v29                                     // 000000006794: 7E3A451D
	v_mov_b32_e32 v50, 0x43700000                              // 000000006798: 7E6402FF 43700000
	v_mul_f32_e32 v28, v50, v28                                // 0000000067A0: 0A383932
	v_mul_f32_e32 v29, v50, v29                                // 0000000067A4: 0A3A3B32
	v_mul_f32_e32 v128, v28, v128                              // 0000000067A8: 0B01011C
	v_mul_f32_e32 v129, v28, v129                              // 0000000067AC: 0B03031C
	v_mul_f32_e32 v130, v28, v130                              // 0000000067B0: 0B05051C
	v_mul_f32_e32 v131, v28, v131                              // 0000000067B4: 0B07071C
	v_cvt_pk_fp8_f32 v128, v128, v129                          // 0000000067B8: D2A20080 00030380
	v_cvt_pk_fp8_f32 v128, v130, v131 op_sel:[0,0,1]           // 0000000067C0: D2A24080 00030782
	v_mul_f32_e32 v132, v29, v132                              // 0000000067C8: 0B09091D
	v_mul_f32_e32 v133, v29, v133                              // 0000000067CC: 0B0B0B1D
	v_mul_f32_e32 v134, v29, v134                              // 0000000067D0: 0B0D0D1D
	v_mul_f32_e32 v135, v29, v135                              // 0000000067D4: 0B0F0F1D
	v_cvt_pk_fp8_f32 v129, v132, v133                          // 0000000067D8: D2A20081 00030B84
	v_cvt_pk_fp8_f32 v129, v134, v135 op_sel:[0,0,1]           // 0000000067E0: D2A24081 00030F86
	v_mul_f32_e32 v136, v28, v136                              // 0000000067E8: 0B11111C
	v_mul_f32_e32 v137, v28, v137                              // 0000000067EC: 0B13131C
	v_mul_f32_e32 v138, v28, v138                              // 0000000067F0: 0B15151C
	v_mul_f32_e32 v139, v28, v139                              // 0000000067F4: 0B17171C
	v_cvt_pk_fp8_f32 v130, v136, v137                          // 0000000067F8: D2A20082 00031388
	v_cvt_pk_fp8_f32 v130, v138, v139 op_sel:[0,0,1]           // 000000006800: D2A24082 0003178A
	v_mul_f32_e32 v140, v29, v140                              // 000000006808: 0B19191D
	v_mul_f32_e32 v141, v29, v141                              // 00000000680C: 0B1B1B1D
	v_mul_f32_e32 v142, v29, v142                              // 000000006810: 0B1D1D1D
	v_mul_f32_e32 v143, v29, v143                              // 000000006814: 0B1F1F1D
	v_cvt_pk_fp8_f32 v131, v140, v141                          // 000000006818: D2A20083 00031B8C
	v_cvt_pk_fp8_f32 v131, v142, v143 op_sel:[0,0,1]           // 000000006820: D2A24083 00031F8E
	v_rcp_f32_e32 v30, v28                                     // 000000006828: 7E3C451C
	v_rcp_f32_e32 v31, v29                                     // 00000000682C: 7E3E451D
	v_lshrrev_b32_e32 v50, 5, v0                               // 000000006830: 20640085
	v_lshlrev_b32_e32 v51, 5, v50                              // 000000006834: 24666485
	v_and_b32_e32 v50, 31, v0                                  // 000000006838: 2664009F
	v_lshrrev_b32_e32 v52, 4, v50                              // 00000000683C: 20686484
	v_add_u32_e32 v51, v52, v51                                // 000000006840: 68666734
	v_and_b32_e32 v50, 15, v0                                  // 000000006844: 2664008F
	v_lshlrev_b32_e32 v50, 1, v50                              // 000000006848: 24646481
	v_add_u32_e32 v51, v50, v51                                // 00000000684C: 68666732
	v_lshlrev_b32_e32 v50, 2, v51                              // 000000006850: 24646682
	s_mul_i32 s60, 0x100, s7                                   // 000000006854: 923C07FF 00000100
	v_add_u32_e64 v50, v50, s60                                // 00000000685C: D1340032 00007932
	ds_write_b32 v50, v128 offset:20736                        // 000000006864: D81A5100 00008032
	ds_write_b32 v50, v129 offset:22784                        // 00000000686C: D81A5900 00008132
	ds_write_b32 v50, v130 offset:21760                        // 000000006874: D81A5500 00008232
	ds_write_b32 v50, v131 offset:23808                        // 00000000687C: D81A5D00 00008332
	s_waitcnt lgkmcnt(0)                                       // 000000006884: BF8CC07F
	s_barrier                                                  // 000000006888: BF8A0000
	v_lshrrev_b32_e32 v50, 4, v0                               // 00000000688C: 20640084
	v_lshlrev_b32_e32 v51, 6, v50                              // 000000006890: 24666486
	v_and_b32_e32 v50, 15, v0                                  // 000000006894: 2664008F
	v_lshlrev_b32_e32 v50, 1, v50                              // 000000006898: 24646481
	v_add_u32_e32 v51, v50, v51                                // 00000000689C: 68666732
	v_lshlrev_b32_e32 v50, 2, v51                              // 0000000068A0: 24646682
	ds_read_b64 v[128:129], v50 offset:20736                   // 0000000068A4: D8EC5100 80000032
	ds_read_b64 v[130:131], v50 offset:20864                   // 0000000068AC: D8EC5180 82000032
	ds_read_b64 v[132:133], v50 offset:21760                   // 0000000068B4: D8EC5500 84000032
	ds_read_b64 v[134:135], v50 offset:21888                   // 0000000068BC: D8EC5580 86000032
	ds_read_b64 v[136:137], v50 offset:22784                   // 0000000068C4: D8EC5900 88000032
	ds_read_b64 v[138:139], v50 offset:22912                   // 0000000068CC: D8EC5980 8A000032
	ds_read_b64 v[140:141], v50 offset:23808                   // 0000000068D4: D8EC5D00 8C000032
	ds_read_b64 v[142:143], v50 offset:23936                   // 0000000068DC: D8EC5D80 8E000032
	s_add_u32 s12, s56, s12                                    // 0000000068E4: 800C0C38
	s_addc_u32 s13, 0, s13                                     // 0000000068E8: 820D0D80
	s_add_u32 s16, s79, s16                                    // 0000000068EC: 8010104F
	s_addc_u32 s17, 0, s17                                     // 0000000068F0: 82111180
	s_mov_b32 s80, 0                                           // 0000000068F4: BED00080
	s_waitcnt vmcnt(0) expcnt(0) lgkmcnt(0)                    // 0000000068F8: BF8C0000

00000000000068fc <label_0EBF>:
	s_waitcnt vmcnt(20)                                        // 0000000068FC: BF8C4F74
	s_barrier                                                  // 000000006900: BF8A0000
	v_mfma_f32_16x16x32_fp8_fp8 v[192:195], a[0:1], v[128:129], 0// 000000006904: D3F300C0 0A030100
	buffer_load_dwordx4 a[32:35], v42, s[12:15], 0 offen       // 00000000690C: E05C1000 8083202A
	v_mfma_f32_16x16x32_fp8_fp8 v[192:195], a[2:3], v[130:131], v[192:195]// 000000006914: D3F300C0 0F030502
	v_mfma_f32_16x16x32_fp8_fp8 v[196:199], a[0:1], v[136:137], 0// 00000000691C: D3F300C4 0A031100
	buffer_load_dword v24, v6, s[16:19], 0 offen               // 000000006924: E0501000 80041806
	v_mfma_f32_16x16x32_fp8_fp8 v[196:199], a[2:3], v[138:139], v[196:199]// 00000000692C: D3F300C4 0F131502
	v_mfma_f32_16x16x32_fp8_fp8 v[200:203], a[4:5], v[128:129], 0// 000000006934: D3F300C8 0A030104
	buffer_load_dwordx4 a[36:39], v43, s[12:15], 0 offen       // 00000000693C: E05C1000 8083242B
	v_mfma_f32_16x16x32_fp8_fp8 v[200:203], a[6:7], v[130:131], v[200:203]// 000000006944: D3F300C8 0F230506
	v_mfma_f32_16x16x32_fp8_fp8 v[204:207], a[4:5], v[136:137], 0// 00000000694C: D3F300CC 0A031104
	v_mfma_f32_16x16x32_fp8_fp8 v[204:207], a[6:7], v[138:139], v[204:207]// 000000006954: D3F300CC 0F331506
	v_mfma_f32_16x16x32_fp8_fp8 v[208:211], a[8:9], v[128:129], 0// 00000000695C: D3F300D0 0A030108
	buffer_load_dwordx4 a[40:43], v44, s[12:15], 0 offen       // 000000006964: E05C1000 8083282C
	v_mfma_f32_16x16x32_fp8_fp8 v[208:211], a[10:11], v[130:131], v[208:211]// 00000000696C: D3F300D0 0F43050A
	v_mfma_f32_16x16x32_fp8_fp8 v[212:215], a[8:9], v[136:137], 0// 000000006974: D3F300D4 0A031108
	v_mfma_f32_16x16x32_fp8_fp8 v[212:215], a[10:11], v[138:139], v[212:215]// 00000000697C: D3F300D4 0F53150A
	v_mfma_f32_16x16x32_fp8_fp8 v[216:219], a[12:13], v[128:129], 0// 000000006984: D3F300D8 0A03010C
	buffer_load_dwordx4 a[44:47], v45, s[12:15], 0 offen       // 00000000698C: E05C1000 80832C2D
	s_add_u32 s12, s78, s12                                    // 000000006994: 800C0C4E
	s_addc_u32 s13, 0, s13                                     // 000000006998: 820D0D80
	v_mfma_f32_16x16x32_fp8_fp8 v[216:219], a[14:15], v[130:131], v[216:219]// 00000000699C: D3F300D8 0F63050E
	v_mfma_f32_16x16x32_fp8_fp8 v[220:223], a[12:13], v[136:137], 0// 0000000069A4: D3F300DC 0A03110C
	v_mfma_f32_16x16x32_fp8_fp8 v[220:223], a[14:15], v[138:139], v[220:223]// 0000000069AC: D3F300DC 0F73150E
	s_waitcnt vmcnt(21)                                        // 0000000069B4: BF8C4F75
	v_mfma_f32_16x16x32_fp8_fp8 v[192:195], a[16:17], v[132:133], v[192:195]// 0000000069B8: D3F300C0 0F030910
	buffer_load_dwordx4 a[48:51], v42, s[12:15], 0 offen       // 0000000069C0: E05C1000 8083302A
	v_mfma_f32_16x16x32_fp8_fp8 v[192:195], a[18:19], v[134:135], v[192:195]// 0000000069C8: D3F300C0 0F030D12
	v_mfma_f32_16x16x32_fp8_fp8 v[196:199], a[16:17], v[140:141], v[196:199]// 0000000069D0: D3F300C4 0F131910
	v_mfma_f32_16x16x32_fp8_fp8 v[196:199], a[18:19], v[142:143], v[196:199]// 0000000069D8: D3F300C4 0F131D12
	v_mfma_f32_16x16x32_fp8_fp8 v[200:203], a[20:21], v[132:133], v[200:203]// 0000000069E0: D3F300C8 0F230914
	buffer_load_dwordx4 a[52:55], v43, s[12:15], 0 offen       // 0000000069E8: E05C1000 8083342B
	v_mfma_f32_16x16x32_fp8_fp8 v[200:203], a[22:23], v[134:135], v[200:203]// 0000000069F0: D3F300C8 0F230D16
	v_mfma_f32_16x16x32_fp8_fp8 v[204:207], a[20:21], v[140:141], v[204:207]// 0000000069F8: D3F300CC 0F331914
	v_mfma_f32_16x16x32_fp8_fp8 v[204:207], a[22:23], v[142:143], v[204:207]// 000000006A00: D3F300CC 0F331D16
	v_mfma_f32_16x16x32_fp8_fp8 v[208:211], a[24:25], v[132:133], v[208:211]// 000000006A08: D3F300D0 0F430918
	buffer_load_dwordx4 a[56:59], v44, s[12:15], 0 offen       // 000000006A10: E05C1000 8083382C
	v_mfma_f32_16x16x32_fp8_fp8 v[208:211], a[26:27], v[134:135], v[208:211]// 000000006A18: D3F300D0 0F430D1A
	v_mfma_f32_16x16x32_fp8_fp8 v[212:215], a[24:25], v[140:141], v[212:215]// 000000006A20: D3F300D4 0F531918
	v_mfma_f32_16x16x32_fp8_fp8 v[212:215], a[26:27], v[142:143], v[212:215]// 000000006A28: D3F300D4 0F531D1A
	v_mfma_f32_16x16x32_fp8_fp8 v[216:219], a[28:29], v[132:133], v[216:219]// 000000006A30: D3F300D8 0F63091C
	buffer_load_dwordx4 a[60:63], v45, s[12:15], 0 offen       // 000000006A38: E05C1000 80833C2D
	v_mfma_f32_16x16x32_fp8_fp8 v[216:219], a[30:31], v[134:135], v[216:219]// 000000006A40: D3F300D8 0F630D1E
	v_mfma_f32_16x16x32_fp8_fp8 v[220:223], a[28:29], v[140:141], v[220:223]// 000000006A48: D3F300DC 0F73191C
	v_mfma_f32_16x16x32_fp8_fp8 v[220:223], a[30:31], v[142:143], v[220:223]// 000000006A50: D3F300DC 0F731D1E
	v_mul_f32_dpp v50, v23, v30 row_newbcast:0 row_mask:0xf bank_mask:0xf// 000000006A58: 0A643CFA FF015017
	v_mov_b32_e32 v51, v50                                     // 000000006A60: 7E660332
	v_pk_mul_f32 v[192:193], v[50:51], v[192:193]              // 000000006A64: D3B140C0 18038132
	v_pk_mul_f32 v[194:195], v[50:51], v[194:195]              // 000000006A6C: D3B140C2 18038532
	v_pk_mul_f32 v[200:201], v[50:51], v[200:201]              // 000000006A74: D3B140C8 18039132
	v_pk_mul_f32 v[202:203], v[50:51], v[202:203]              // 000000006A7C: D3B140CA 18039532
	v_mul_f32_dpp v50, v23, v30 row_newbcast:1 row_mask:0xf bank_mask:0xf// 000000006A84: 0A643CFA FF015117
	v_mov_b32_e32 v51, v50                                     // 000000006A8C: 7E660332
	v_pk_mul_f32 v[208:209], v[50:51], v[208:209]              // 000000006A90: D3B140D0 1803A132
	v_pk_mul_f32 v[210:211], v[50:51], v[210:211]              // 000000006A98: D3B140D2 1803A532
	v_pk_mul_f32 v[216:217], v[50:51], v[216:217]              // 000000006AA0: D3B140D8 1803B132
	v_pk_mul_f32 v[218:219], v[50:51], v[218:219]              // 000000006AA8: D3B140DA 1803B532
	v_mul_f32_dpp v50, v23, v31 row_newbcast:0 row_mask:0xf bank_mask:0xf// 000000006AB0: 0A643EFA FF015017
	v_mov_b32_e32 v51, v50                                     // 000000006AB8: 7E660332
	v_pk_mul_f32 v[196:197], v[50:51], v[196:197]              // 000000006ABC: D3B140C4 18038932
	v_pk_mul_f32 v[198:199], v[50:51], v[198:199]              // 000000006AC4: D3B140C6 18038D32
	v_pk_mul_f32 v[204:205], v[50:51], v[204:205]              // 000000006ACC: D3B140CC 18039932
	v_pk_mul_f32 v[206:207], v[50:51], v[206:207]              // 000000006AD4: D3B140CE 18039D32
	v_mul_f32_dpp v50, v23, v31 row_newbcast:1 row_mask:0xf bank_mask:0xf// 000000006ADC: 0A643EFA FF015117
	v_mov_b32_e32 v51, v50                                     // 000000006AE4: 7E660332
	v_pk_mul_f32 v[212:213], v[50:51], v[212:213]              // 000000006AE8: D3B140D4 1803A932
	v_pk_mul_f32 v[214:215], v[50:51], v[214:215]              // 000000006AF0: D3B140D6 1803AD32
	v_pk_mul_f32 v[220:221], v[50:51], v[220:221]              // 000000006AF8: D3B140DC 1803B932
	v_pk_mul_f32 v[222:223], v[50:51], v[222:223]              // 000000006B00: D3B140DE 1803BD32
	s_add_u32 s60, 0x200, s80                                  // 000000006B08: 803C50FF 00000200
	s_cmp_lt_u32 s60, s81                                      // 000000006B10: BF0A513C
	s_cselect_b32 s56, s56, 0                                  // 000000006B14: 85388038
	s_cselect_b32 s78, s78, 0                                  // 000000006B18: 854E804E
	s_cselect_b32 s79, s79, 0                                  // 000000006B1C: 854F804F
	s_add_u32 s12, s56, s12                                    // 000000006B20: 800C0C38
	s_addc_u32 s13, 0, s13                                     // 000000006B24: 820D0D80
	s_add_u32 s16, s79, s16                                    // 000000006B28: 8010104F
	s_addc_u32 s17, 0, s17                                     // 000000006B2C: 82111180
	v_mov_b32_e32 v50, v25                                     // 000000006B30: 7E640319
	v_mov_b32_e32 v51, v25                                     // 000000006B34: 7E660319
	v_pk_mul_f32 v[192:193], v[50:51], v[192:193]              // 000000006B38: D3B140C0 18038132
	v_pk_mul_f32 v[194:195], v[50:51], v[194:195]              // 000000006B40: D3B140C2 18038532
	v_pk_mul_f32 v[200:201], v[50:51], v[200:201]              // 000000006B48: D3B140C8 18039132
	v_pk_mul_f32 v[202:203], v[50:51], v[202:203]              // 000000006B50: D3B140CA 18039532
	v_pk_mul_f32 v[208:209], v[50:51], v[208:209]              // 000000006B58: D3B140D0 1803A132
	v_pk_mul_f32 v[210:211], v[50:51], v[210:211]              // 000000006B60: D3B140D2 1803A532
	v_pk_mul_f32 v[216:217], v[50:51], v[216:217]              // 000000006B68: D3B140D8 1803B132
	v_pk_mul_f32 v[218:219], v[50:51], v[218:219]              // 000000006B70: D3B140DA 1803B532
	v_mov_b32_e32 v50, v26                                     // 000000006B78: 7E64031A
	v_mov_b32_e32 v51, v26                                     // 000000006B7C: 7E66031A
	v_pk_mul_f32 v[196:197], v[50:51], v[196:197]              // 000000006B80: D3B140C4 18038932
	v_pk_mul_f32 v[198:199], v[50:51], v[198:199]              // 000000006B88: D3B140C6 18038D32
	v_pk_mul_f32 v[204:205], v[50:51], v[204:205]              // 000000006B90: D3B140CC 18039932
	v_pk_mul_f32 v[206:207], v[50:51], v[206:207]              // 000000006B98: D3B140CE 18039D32
	v_pk_mul_f32 v[212:213], v[50:51], v[212:213]              // 000000006BA0: D3B140D4 1803A932
	v_pk_mul_f32 v[214:215], v[50:51], v[214:215]              // 000000006BA8: D3B140D6 1803AD32
	v_pk_mul_f32 v[220:221], v[50:51], v[220:221]              // 000000006BB0: D3B140DC 1803B932
	v_pk_mul_f32 v[222:223], v[50:51], v[222:223]              // 000000006BB8: D3B140DE 1803BD32
	v_cmp_u_f32_e64 s[48:49], v192, v192                       // 000000006BC0: D0480030 000381C0
	v_add3_u32 v46, v192, v49, 1                               // 000000006BC8: D1FF002E 020663C0
	v_cndmask_b32_e64 v50, v46, v48, s[48:49]                  // 000000006BD0: D1000032 00C2612E
	v_cmp_u_f32_e64 s[48:49], v193, v193                       // 000000006BD8: D0480030 000383C1
	v_add3_u32 v46, v193, v49, 1                               // 000000006BE0: D1FF002E 020663C1
	v_cndmask_b32_e64 v51, v46, v48, s[48:49]                  // 000000006BE8: D1000033 00C2612E
	v_perm_b32 v192, v51, v50, s52                             // 000000006BF0: D1ED00C0 00D26533
	v_cmp_u_f32_e64 s[48:49], v194, v194                       // 000000006BF8: D0480030 000385C2
	v_add3_u32 v46, v194, v49, 1                               // 000000006C00: D1FF002E 020663C2
	v_cndmask_b32_e64 v50, v46, v48, s[48:49]                  // 000000006C08: D1000032 00C2612E
	v_cmp_u_f32_e64 s[48:49], v195, v195                       // 000000006C10: D0480030 000387C3
	v_add3_u32 v46, v195, v49, 1                               // 000000006C18: D1FF002E 020663C3
	v_cndmask_b32_e64 v51, v46, v48, s[48:49]                  // 000000006C20: D1000033 00C2612E
	v_perm_b32 v193, v51, v50, s52                             // 000000006C28: D1ED00C1 00D26533
	v_cmp_u_f32_e64 s[48:49], v196, v196                       // 000000006C30: D0480030 000389C4
	v_add3_u32 v46, v196, v49, 1                               // 000000006C38: D1FF002E 020663C4
	v_cndmask_b32_e64 v50, v46, v48, s[48:49]                  // 000000006C40: D1000032 00C2612E
	v_cmp_u_f32_e64 s[48:49], v197, v197                       // 000000006C48: D0480030 00038BC5
	v_add3_u32 v46, v197, v49, 1                               // 000000006C50: D1FF002E 020663C5
	v_cndmask_b32_e64 v51, v46, v48, s[48:49]                  // 000000006C58: D1000033 00C2612E
	v_perm_b32 v194, v51, v50, s52                             // 000000006C60: D1ED00C2 00D26533
	v_cmp_u_f32_e64 s[48:49], v198, v198                       // 000000006C68: D0480030 00038DC6
	v_add3_u32 v46, v198, v49, 1                               // 000000006C70: D1FF002E 020663C6
	v_cndmask_b32_e64 v50, v46, v48, s[48:49]                  // 000000006C78: D1000032 00C2612E
	v_cmp_u_f32_e64 s[48:49], v199, v199                       // 000000006C80: D0480030 00038FC7
	v_add3_u32 v46, v199, v49, 1                               // 000000006C88: D1FF002E 020663C7
	v_cndmask_b32_e64 v51, v46, v48, s[48:49]                  // 000000006C90: D1000033 00C2612E
	v_perm_b32 v195, v51, v50, s52                             // 000000006C98: D1ED00C3 00D26533
	v_cmp_u_f32_e64 s[48:49], v200, v200                       // 000000006CA0: D0480030 000391C8
	v_add3_u32 v46, v200, v49, 1                               // 000000006CA8: D1FF002E 020663C8
	v_cndmask_b32_e64 v50, v46, v48, s[48:49]                  // 000000006CB0: D1000032 00C2612E
	v_cmp_u_f32_e64 s[48:49], v201, v201                       // 000000006CB8: D0480030 000393C9
	v_add3_u32 v46, v201, v49, 1                               // 000000006CC0: D1FF002E 020663C9
	v_cndmask_b32_e64 v51, v46, v48, s[48:49]                  // 000000006CC8: D1000033 00C2612E
	v_perm_b32 v196, v51, v50, s52                             // 000000006CD0: D1ED00C4 00D26533
	v_cmp_u_f32_e64 s[48:49], v202, v202                       // 000000006CD8: D0480030 000395CA
	v_add3_u32 v46, v202, v49, 1                               // 000000006CE0: D1FF002E 020663CA
	v_cndmask_b32_e64 v50, v46, v48, s[48:49]                  // 000000006CE8: D1000032 00C2612E
	v_cmp_u_f32_e64 s[48:49], v203, v203                       // 000000006CF0: D0480030 000397CB
	v_add3_u32 v46, v203, v49, 1                               // 000000006CF8: D1FF002E 020663CB
	v_cndmask_b32_e64 v51, v46, v48, s[48:49]                  // 000000006D00: D1000033 00C2612E
	v_perm_b32 v197, v51, v50, s52                             // 000000006D08: D1ED00C5 00D26533
	v_cmp_u_f32_e64 s[48:49], v204, v204                       // 000000006D10: D0480030 000399CC
	v_add3_u32 v46, v204, v49, 1                               // 000000006D18: D1FF002E 020663CC
	v_cndmask_b32_e64 v50, v46, v48, s[48:49]                  // 000000006D20: D1000032 00C2612E
	v_cmp_u_f32_e64 s[48:49], v205, v205                       // 000000006D28: D0480030 00039BCD
	v_add3_u32 v46, v205, v49, 1                               // 000000006D30: D1FF002E 020663CD
	v_cndmask_b32_e64 v51, v46, v48, s[48:49]                  // 000000006D38: D1000033 00C2612E
	v_perm_b32 v198, v51, v50, s52                             // 000000006D40: D1ED00C6 00D26533
	v_cmp_u_f32_e64 s[48:49], v206, v206                       // 000000006D48: D0480030 00039DCE
	v_add3_u32 v46, v206, v49, 1                               // 000000006D50: D1FF002E 020663CE
	v_cndmask_b32_e64 v50, v46, v48, s[48:49]                  // 000000006D58: D1000032 00C2612E
	v_cmp_u_f32_e64 s[48:49], v207, v207                       // 000000006D60: D0480030 00039FCF
	v_add3_u32 v46, v207, v49, 1                               // 000000006D68: D1FF002E 020663CF
	v_cndmask_b32_e64 v51, v46, v48, s[48:49]                  // 000000006D70: D1000033 00C2612E
	v_perm_b32 v199, v51, v50, s52                             // 000000006D78: D1ED00C7 00D26533
	v_cmp_u_f32_e64 s[48:49], v208, v208                       // 000000006D80: D0480030 0003A1D0
	v_add3_u32 v46, v208, v49, 1                               // 000000006D88: D1FF002E 020663D0
	v_cndmask_b32_e64 v50, v46, v48, s[48:49]                  // 000000006D90: D1000032 00C2612E
	v_cmp_u_f32_e64 s[48:49], v209, v209                       // 000000006D98: D0480030 0003A3D1
	v_add3_u32 v46, v209, v49, 1                               // 000000006DA0: D1FF002E 020663D1
	v_cndmask_b32_e64 v51, v46, v48, s[48:49]                  // 000000006DA8: D1000033 00C2612E
	v_perm_b32 v200, v51, v50, s52                             // 000000006DB0: D1ED00C8 00D26533
	v_cmp_u_f32_e64 s[48:49], v210, v210                       // 000000006DB8: D0480030 0003A5D2
	v_add3_u32 v46, v210, v49, 1                               // 000000006DC0: D1FF002E 020663D2
	v_cndmask_b32_e64 v50, v46, v48, s[48:49]                  // 000000006DC8: D1000032 00C2612E
	v_cmp_u_f32_e64 s[48:49], v211, v211                       // 000000006DD0: D0480030 0003A7D3
	v_add3_u32 v46, v211, v49, 1                               // 000000006DD8: D1FF002E 020663D3
	v_cndmask_b32_e64 v51, v46, v48, s[48:49]                  // 000000006DE0: D1000033 00C2612E
	v_perm_b32 v201, v51, v50, s52                             // 000000006DE8: D1ED00C9 00D26533
	v_cmp_u_f32_e64 s[48:49], v212, v212                       // 000000006DF0: D0480030 0003A9D4
	v_add3_u32 v46, v212, v49, 1                               // 000000006DF8: D1FF002E 020663D4
	v_cndmask_b32_e64 v50, v46, v48, s[48:49]                  // 000000006E00: D1000032 00C2612E
	v_cmp_u_f32_e64 s[48:49], v213, v213                       // 000000006E08: D0480030 0003ABD5
	v_add3_u32 v46, v213, v49, 1                               // 000000006E10: D1FF002E 020663D5
	v_cndmask_b32_e64 v51, v46, v48, s[48:49]                  // 000000006E18: D1000033 00C2612E
	v_perm_b32 v202, v51, v50, s52                             // 000000006E20: D1ED00CA 00D26533
	v_cmp_u_f32_e64 s[48:49], v214, v214                       // 000000006E28: D0480030 0003ADD6
	v_add3_u32 v46, v214, v49, 1                               // 000000006E30: D1FF002E 020663D6
	v_cndmask_b32_e64 v50, v46, v48, s[48:49]                  // 000000006E38: D1000032 00C2612E
	v_cmp_u_f32_e64 s[48:49], v215, v215                       // 000000006E40: D0480030 0003AFD7
	v_add3_u32 v46, v215, v49, 1                               // 000000006E48: D1FF002E 020663D7
	v_cndmask_b32_e64 v51, v46, v48, s[48:49]                  // 000000006E50: D1000033 00C2612E
	v_perm_b32 v203, v51, v50, s52                             // 000000006E58: D1ED00CB 00D26533
	v_cmp_u_f32_e64 s[48:49], v216, v216                       // 000000006E60: D0480030 0003B1D8
	v_add3_u32 v46, v216, v49, 1                               // 000000006E68: D1FF002E 020663D8
	v_cndmask_b32_e64 v50, v46, v48, s[48:49]                  // 000000006E70: D1000032 00C2612E
	v_cmp_u_f32_e64 s[48:49], v217, v217                       // 000000006E78: D0480030 0003B3D9
	v_add3_u32 v46, v217, v49, 1                               // 000000006E80: D1FF002E 020663D9
	v_cndmask_b32_e64 v51, v46, v48, s[48:49]                  // 000000006E88: D1000033 00C2612E
	v_perm_b32 v204, v51, v50, s52                             // 000000006E90: D1ED00CC 00D26533
	v_cmp_u_f32_e64 s[48:49], v218, v218                       // 000000006E98: D0480030 0003B5DA
	v_add3_u32 v46, v218, v49, 1                               // 000000006EA0: D1FF002E 020663DA
	v_cndmask_b32_e64 v50, v46, v48, s[48:49]                  // 000000006EA8: D1000032 00C2612E
	v_cmp_u_f32_e64 s[48:49], v219, v219                       // 000000006EB0: D0480030 0003B7DB
	v_add3_u32 v46, v219, v49, 1                               // 000000006EB8: D1FF002E 020663DB
	v_cndmask_b32_e64 v51, v46, v48, s[48:49]                  // 000000006EC0: D1000033 00C2612E
	v_perm_b32 v205, v51, v50, s52                             // 000000006EC8: D1ED00CD 00D26533
	v_cmp_u_f32_e64 s[48:49], v220, v220                       // 000000006ED0: D0480030 0003B9DC
	v_add3_u32 v46, v220, v49, 1                               // 000000006ED8: D1FF002E 020663DC
	v_cndmask_b32_e64 v50, v46, v48, s[48:49]                  // 000000006EE0: D1000032 00C2612E
	v_cmp_u_f32_e64 s[48:49], v221, v221                       // 000000006EE8: D0480030 0003BBDD
	v_add3_u32 v46, v221, v49, 1                               // 000000006EF0: D1FF002E 020663DD
	v_cndmask_b32_e64 v51, v46, v48, s[48:49]                  // 000000006EF8: D1000033 00C2612E
	v_perm_b32 v206, v51, v50, s52                             // 000000006F00: D1ED00CE 00D26533
	v_cmp_u_f32_e64 s[48:49], v222, v222                       // 000000006F08: D0480030 0003BDDE
	v_add3_u32 v46, v222, v49, 1                               // 000000006F10: D1FF002E 020663DE
	v_cndmask_b32_e64 v50, v46, v48, s[48:49]                  // 000000006F18: D1000032 00C2612E
	v_cmp_u_f32_e64 s[48:49], v223, v223                       // 000000006F20: D0480030 0003BFDF
	v_add3_u32 v46, v223, v49, 1                               // 000000006F28: D1FF002E 020663DF
	v_cndmask_b32_e64 v51, v46, v48, s[48:49]                  // 000000006F30: D1000033 00C2612E
	v_perm_b32 v207, v51, v50, s52                             // 000000006F38: D1ED00CF 00D26533
	ds_write_b64 v4, v[192:193] offset:24832                   // 000000006F40: D89A6100 0000C004
	ds_write_b64 v4, v[194:195] offset:33536                   // 000000006F48: D89A8300 0000C204
	ds_write_b64 v4, v[196:197] offset:27008                   // 000000006F50: D89A6980 0000C404
	ds_write_b64 v4, v[198:199] offset:35712                   // 000000006F58: D89A8B80 0000C604
	ds_write_b64 v4, v[200:201] offset:29184                   // 000000006F60: D89A7200 0000C804
	ds_write_b64 v4, v[202:203] offset:37888                   // 000000006F68: D89A9400 0000CA04
	ds_write_b64 v4, v[204:205] offset:31360                   // 000000006F70: D89A7A80 0000CC04
	ds_write_b64 v4, v[206:207] offset:40064                   // 000000006F78: D89A9C80 0000CE04
	s_waitcnt lgkmcnt(0)                                       // 000000006F80: BF8CC07F
	s_barrier                                                  // 000000006F84: BF8A0000
	ds_read_b32 v64, v5 offset:24832                           // 000000006F88: D86C6100 40000005
	ds_read_b32 v65, v5 offset:29184                           // 000000006F90: D86C7200 41000005
	ds_read_b32 v66, v5 offset:24864                           // 000000006F98: D86C6120 42000005
	ds_read_b32 v67, v5 offset:29216                           // 000000006FA0: D86C7220 43000005
	ds_read_b32 v68, v5 offset:24896                           // 000000006FA8: D86C6140 44000005
	ds_read_b32 v69, v5 offset:29248                           // 000000006FB0: D86C7240 45000005
	ds_read_b32 v70, v5 offset:24928                           // 000000006FB8: D86C6160 46000005
	ds_read_b32 v71, v5 offset:29280                           // 000000006FC0: D86C7260 47000005
	ds_read_b32 v72, v5 offset:33536                           // 000000006FC8: D86C8300 48000005
	ds_read_b32 v73, v5 offset:37888                           // 000000006FD0: D86C9400 49000005
	ds_read_b32 v74, v5 offset:33568                           // 000000006FD8: D86C8320 4A000005
	ds_read_b32 v75, v5 offset:37920                           // 000000006FE0: D86C9420 4B000005
	ds_read_b32 v76, v5 offset:33600                           // 000000006FE8: D86C8340 4C000005
	ds_read_b32 v77, v5 offset:37952                           // 000000006FF0: D86C9440 4D000005
	ds_read_b32 v78, v5 offset:33632                           // 000000006FF8: D86C8360 4E000005
	ds_read_b32 v79, v5 offset:37984                           // 000000007000: D86C9460 4F000005
	s_waitcnt lgkmcnt(0)                                       // 000000007008: BF8CC07F
	s_mov_b64 exec, s[20:21]                                   // 00000000700C: BEFE0114
	global_atomic_pk_add_bf16 v80, v64, s[8:9]                 // 000000007010: DD488000 00084050
	s_mov_b64 exec, s[36:37]                                   // 000000007018: BEFE0124
	s_mov_b64 exec, s[20:21]                                   // 00000000701C: BEFE0114
	global_atomic_pk_add_bf16 v80, v65, s[8:9] offset:256      // 000000007020: DD488100 00084150
	s_mov_b64 exec, s[36:37]                                   // 000000007028: BEFE0124
	s_mov_b64 exec, s[22:23]                                   // 00000000702C: BEFE0116
	global_atomic_pk_add_bf16 v82, v66, s[8:9]                 // 000000007030: DD488000 00084252
	s_mov_b64 exec, s[36:37]                                   // 000000007038: BEFE0124
	s_mov_b64 exec, s[22:23]                                   // 00000000703C: BEFE0116
	global_atomic_pk_add_bf16 v82, v67, s[8:9] offset:256      // 000000007040: DD488100 00084352
	s_mov_b64 exec, s[36:37]                                   // 000000007048: BEFE0124
	s_mov_b64 exec, s[24:25]                                   // 00000000704C: BEFE0118
	global_atomic_pk_add_bf16 v84, v68, s[8:9]                 // 000000007050: DD488000 00084454
	s_mov_b64 exec, s[36:37]                                   // 000000007058: BEFE0124
	s_mov_b64 exec, s[24:25]                                   // 00000000705C: BEFE0118
	global_atomic_pk_add_bf16 v84, v69, s[8:9] offset:256      // 000000007060: DD488100 00084554
	s_mov_b64 exec, s[36:37]                                   // 000000007068: BEFE0124
	s_mov_b64 exec, s[26:27]                                   // 00000000706C: BEFE011A
	global_atomic_pk_add_bf16 v86, v70, s[8:9]                 // 000000007070: DD488000 00084656
	s_mov_b64 exec, s[36:37]                                   // 000000007078: BEFE0124
	s_mov_b64 exec, s[26:27]                                   // 00000000707C: BEFE011A
	global_atomic_pk_add_bf16 v86, v71, s[8:9] offset:256      // 000000007080: DD488100 00084756
	s_mov_b64 exec, s[36:37]                                   // 000000007088: BEFE0124
	s_mov_b64 exec, s[28:29]                                   // 00000000708C: BEFE011C
	global_atomic_pk_add_bf16 v88, v72, s[8:9]                 // 000000007090: DD488000 00084858
	s_mov_b64 exec, s[36:37]                                   // 000000007098: BEFE0124
	s_mov_b64 exec, s[28:29]                                   // 00000000709C: BEFE011C
	global_atomic_pk_add_bf16 v88, v73, s[8:9] offset:256      // 0000000070A0: DD488100 00084958
	s_mov_b64 exec, s[36:37]                                   // 0000000070A8: BEFE0124
	s_mov_b64 exec, s[30:31]                                   // 0000000070AC: BEFE011E
	global_atomic_pk_add_bf16 v90, v74, s[8:9]                 // 0000000070B0: DD488000 00084A5A
	s_mov_b64 exec, s[36:37]                                   // 0000000070B8: BEFE0124
	s_mov_b64 exec, s[30:31]                                   // 0000000070BC: BEFE011E
	global_atomic_pk_add_bf16 v90, v75, s[8:9] offset:256      // 0000000070C0: DD488100 00084B5A
	s_mov_b64 exec, s[36:37]                                   // 0000000070C8: BEFE0124
	s_mov_b64 exec, s[32:33]                                   // 0000000070CC: BEFE0120
	global_atomic_pk_add_bf16 v92, v76, s[8:9]                 // 0000000070D0: DD488000 00084C5C
	s_mov_b64 exec, s[36:37]                                   // 0000000070D8: BEFE0124
	s_mov_b64 exec, s[32:33]                                   // 0000000070DC: BEFE0120
	global_atomic_pk_add_bf16 v92, v77, s[8:9] offset:256      // 0000000070E0: DD488100 00084D5C
	s_mov_b64 exec, s[36:37]                                   // 0000000070E8: BEFE0124
	s_mov_b64 exec, s[34:35]                                   // 0000000070EC: BEFE0122
	global_atomic_pk_add_bf16 v94, v78, s[8:9]                 // 0000000070F0: DD488000 00084E5E
	s_mov_b64 exec, s[36:37]                                   // 0000000070F8: BEFE0124
	s_mov_b64 exec, s[34:35]                                   // 0000000070FC: BEFE0122
	global_atomic_pk_add_bf16 v94, v79, s[8:9] offset:256      // 000000007100: DD488100 00084F5E
	s_mov_b64 exec, s[36:37]                                   // 000000007108: BEFE0124
	s_add_u32 s8, s59, s8                                      // 00000000710C: 8008083B
	s_addc_u32 s9, 0, s9                                       // 000000007110: 82090980
	s_addk_i32 s80, 0x100                                      // 000000007114: B7500100
	s_cmp_lt_i32 s80, s81                                      // 000000007118: BF045150
	s_cbranch_scc0 label_0A8F                                  // 00000000711C: BF84F9C7
	s_waitcnt vmcnt(20)                                        // 000000007120: BF8C4F74
	s_barrier                                                  // 000000007124: BF8A0000
	v_mfma_f32_16x16x32_fp8_fp8 v[224:227], a[32:33], v[128:129], 0// 000000007128: D3F300E0 0A030120
	buffer_load_dwordx4 a[0:3], v42, s[12:15], 0 offen         // 000000007130: E05C1000 8083002A
	v_mfma_f32_16x16x32_fp8_fp8 v[224:227], a[34:35], v[130:131], v[224:227]// 000000007138: D3F300E0 0F830522
	v_mfma_f32_16x16x32_fp8_fp8 v[228:231], a[32:33], v[136:137], 0// 000000007140: D3F300E4 0A031120
	buffer_load_dword v23, v6, s[16:19], 0 offen               // 000000007148: E0501000 80041706
	v_mfma_f32_16x16x32_fp8_fp8 v[228:231], a[34:35], v[138:139], v[228:231]// 000000007150: D3F300E4 0F931522
	v_mfma_f32_16x16x32_fp8_fp8 v[232:235], a[36:37], v[128:129], 0// 000000007158: D3F300E8 0A030124
	buffer_load_dwordx4 a[4:7], v43, s[12:15], 0 offen         // 000000007160: E05C1000 8083042B
	v_mfma_f32_16x16x32_fp8_fp8 v[232:235], a[38:39], v[130:131], v[232:235]// 000000007168: D3F300E8 0FA30526
	v_mfma_f32_16x16x32_fp8_fp8 v[236:239], a[36:37], v[136:137], 0// 000000007170: D3F300EC 0A031124
	v_mfma_f32_16x16x32_fp8_fp8 v[236:239], a[38:39], v[138:139], v[236:239]// 000000007178: D3F300EC 0FB31526
	v_mfma_f32_16x16x32_fp8_fp8 v[240:243], a[40:41], v[128:129], 0// 000000007180: D3F300F0 0A030128
	buffer_load_dwordx4 a[8:11], v44, s[12:15], 0 offen        // 000000007188: E05C1000 8083082C
	v_mfma_f32_16x16x32_fp8_fp8 v[240:243], a[42:43], v[130:131], v[240:243]// 000000007190: D3F300F0 0FC3052A
	v_mfma_f32_16x16x32_fp8_fp8 v[244:247], a[40:41], v[136:137], 0// 000000007198: D3F300F4 0A031128
	v_mfma_f32_16x16x32_fp8_fp8 v[244:247], a[42:43], v[138:139], v[244:247]// 0000000071A0: D3F300F4 0FD3152A
	v_mfma_f32_16x16x32_fp8_fp8 v[248:251], a[44:45], v[128:129], 0// 0000000071A8: D3F300F8 0A03012C
	buffer_load_dwordx4 a[12:15], v45, s[12:15], 0 offen       // 0000000071B0: E05C1000 80830C2D
	s_add_u32 s12, s78, s12                                    // 0000000071B8: 800C0C4E
	s_addc_u32 s13, 0, s13                                     // 0000000071BC: 820D0D80
	v_mfma_f32_16x16x32_fp8_fp8 v[248:251], a[46:47], v[130:131], v[248:251]// 0000000071C0: D3F300F8 0FE3052E
	v_mfma_f32_16x16x32_fp8_fp8 v[252:255], a[44:45], v[136:137], 0// 0000000071C8: D3F300FC 0A03112C
	v_mfma_f32_16x16x32_fp8_fp8 v[252:255], a[46:47], v[138:139], v[252:255]// 0000000071D0: D3F300FC 0FF3152E
	s_waitcnt vmcnt(21)                                        // 0000000071D8: BF8C4F75
	v_mfma_f32_16x16x32_fp8_fp8 v[224:227], a[48:49], v[132:133], v[224:227]// 0000000071DC: D3F300E0 0F830930
	buffer_load_dwordx4 a[16:19], v42, s[12:15], 0 offen       // 0000000071E4: E05C1000 8083102A
	v_mfma_f32_16x16x32_fp8_fp8 v[224:227], a[50:51], v[134:135], v[224:227]// 0000000071EC: D3F300E0 0F830D32
	v_mfma_f32_16x16x32_fp8_fp8 v[228:231], a[48:49], v[140:141], v[228:231]// 0000000071F4: D3F300E4 0F931930
	v_mfma_f32_16x16x32_fp8_fp8 v[228:231], a[50:51], v[142:143], v[228:231]// 0000000071FC: D3F300E4 0F931D32
	v_mfma_f32_16x16x32_fp8_fp8 v[232:235], a[52:53], v[132:133], v[232:235]// 000000007204: D3F300E8 0FA30934
	buffer_load_dwordx4 a[20:23], v43, s[12:15], 0 offen       // 00000000720C: E05C1000 8083142B
	v_mfma_f32_16x16x32_fp8_fp8 v[232:235], a[54:55], v[134:135], v[232:235]// 000000007214: D3F300E8 0FA30D36
	v_mfma_f32_16x16x32_fp8_fp8 v[236:239], a[52:53], v[140:141], v[236:239]// 00000000721C: D3F300EC 0FB31934
	v_mfma_f32_16x16x32_fp8_fp8 v[236:239], a[54:55], v[142:143], v[236:239]// 000000007224: D3F300EC 0FB31D36
	v_mfma_f32_16x16x32_fp8_fp8 v[240:243], a[56:57], v[132:133], v[240:243]// 00000000722C: D3F300F0 0FC30938
	buffer_load_dwordx4 a[24:27], v44, s[12:15], 0 offen       // 000000007234: E05C1000 8083182C
	v_mfma_f32_16x16x32_fp8_fp8 v[240:243], a[58:59], v[134:135], v[240:243]// 00000000723C: D3F300F0 0FC30D3A
	v_mfma_f32_16x16x32_fp8_fp8 v[244:247], a[56:57], v[140:141], v[244:247]// 000000007244: D3F300F4 0FD31938
	v_mfma_f32_16x16x32_fp8_fp8 v[244:247], a[58:59], v[142:143], v[244:247]// 00000000724C: D3F300F4 0FD31D3A
	v_mfma_f32_16x16x32_fp8_fp8 v[248:251], a[60:61], v[132:133], v[248:251]// 000000007254: D3F300F8 0FE3093C
	buffer_load_dwordx4 a[28:31], v45, s[12:15], 0 offen       // 00000000725C: E05C1000 80831C2D
	v_mfma_f32_16x16x32_fp8_fp8 v[248:251], a[62:63], v[134:135], v[248:251]// 000000007264: D3F300F8 0FE30D3E
	v_mfma_f32_16x16x32_fp8_fp8 v[252:255], a[60:61], v[140:141], v[252:255]// 00000000726C: D3F300FC 0FF3193C
	v_mfma_f32_16x16x32_fp8_fp8 v[252:255], a[62:63], v[142:143], v[252:255]// 000000007274: D3F300FC 0FF31D3E
	v_mul_f32_dpp v50, v24, v30 row_newbcast:0 row_mask:0xf bank_mask:0xf// 00000000727C: 0A643CFA FF015018
	v_mov_b32_e32 v51, v50                                     // 000000007284: 7E660332
	v_pk_mul_f32 v[224:225], v[50:51], v[224:225]              // 000000007288: D3B140E0 1803C132
	v_pk_mul_f32 v[226:227], v[50:51], v[226:227]              // 000000007290: D3B140E2 1803C532
	v_pk_mul_f32 v[232:233], v[50:51], v[232:233]              // 000000007298: D3B140E8 1803D132
	v_pk_mul_f32 v[234:235], v[50:51], v[234:235]              // 0000000072A0: D3B140EA 1803D532
	v_mul_f32_dpp v50, v24, v30 row_newbcast:1 row_mask:0xf bank_mask:0xf// 0000000072A8: 0A643CFA FF015118
	v_mov_b32_e32 v51, v50                                     // 0000000072B0: 7E660332
	v_pk_mul_f32 v[240:241], v[50:51], v[240:241]              // 0000000072B4: D3B140F0 1803E132
	v_pk_mul_f32 v[242:243], v[50:51], v[242:243]              // 0000000072BC: D3B140F2 1803E532
	v_pk_mul_f32 v[248:249], v[50:51], v[248:249]              // 0000000072C4: D3B140F8 1803F132
	v_pk_mul_f32 v[250:251], v[50:51], v[250:251]              // 0000000072CC: D3B140FA 1803F532
	v_mul_f32_dpp v50, v24, v31 row_newbcast:0 row_mask:0xf bank_mask:0xf// 0000000072D4: 0A643EFA FF015018
	v_mov_b32_e32 v51, v50                                     // 0000000072DC: 7E660332
	v_pk_mul_f32 v[228:229], v[50:51], v[228:229]              // 0000000072E0: D3B140E4 1803C932
	v_pk_mul_f32 v[230:231], v[50:51], v[230:231]              // 0000000072E8: D3B140E6 1803CD32
	v_pk_mul_f32 v[236:237], v[50:51], v[236:237]              // 0000000072F0: D3B140EC 1803D932
	v_pk_mul_f32 v[238:239], v[50:51], v[238:239]              // 0000000072F8: D3B140EE 1803DD32
	v_mul_f32_dpp v50, v24, v31 row_newbcast:1 row_mask:0xf bank_mask:0xf// 000000007300: 0A643EFA FF015118
	v_mov_b32_e32 v51, v50                                     // 000000007308: 7E660332
	v_pk_mul_f32 v[244:245], v[50:51], v[244:245]              // 00000000730C: D3B140F4 1803E932
	v_pk_mul_f32 v[246:247], v[50:51], v[246:247]              // 000000007314: D3B140F6 1803ED32
	v_pk_mul_f32 v[252:253], v[50:51], v[252:253]              // 00000000731C: D3B140FC 1803F932
	v_pk_mul_f32 v[254:255], v[50:51], v[254:255]              // 000000007324: D3B140FE 1803FD32
	s_add_u32 s60, 0x200, s80                                  // 00000000732C: 803C50FF 00000200
	s_cmp_lt_u32 s60, s81                                      // 000000007334: BF0A513C
	s_cselect_b32 s56, s56, 0                                  // 000000007338: 85388038
	s_cselect_b32 s78, s78, 0                                  // 00000000733C: 854E804E
	s_cselect_b32 s79, s79, 0                                  // 000000007340: 854F804F
	s_add_u32 s12, s56, s12                                    // 000000007344: 800C0C38
	s_addc_u32 s13, 0, s13                                     // 000000007348: 820D0D80
	s_add_u32 s16, s79, s16                                    // 00000000734C: 8010104F
	s_addc_u32 s17, 0, s17                                     // 000000007350: 82111180
	v_mov_b32_e32 v50, v25                                     // 000000007354: 7E640319
	v_mov_b32_e32 v51, v25                                     // 000000007358: 7E660319
	v_pk_mul_f32 v[224:225], v[50:51], v[224:225]              // 00000000735C: D3B140E0 1803C132
	v_pk_mul_f32 v[226:227], v[50:51], v[226:227]              // 000000007364: D3B140E2 1803C532
	v_pk_mul_f32 v[232:233], v[50:51], v[232:233]              // 00000000736C: D3B140E8 1803D132
	v_pk_mul_f32 v[234:235], v[50:51], v[234:235]              // 000000007374: D3B140EA 1803D532
	v_pk_mul_f32 v[240:241], v[50:51], v[240:241]              // 00000000737C: D3B140F0 1803E132
	v_pk_mul_f32 v[242:243], v[50:51], v[242:243]              // 000000007384: D3B140F2 1803E532
	v_pk_mul_f32 v[248:249], v[50:51], v[248:249]              // 00000000738C: D3B140F8 1803F132
	v_pk_mul_f32 v[250:251], v[50:51], v[250:251]              // 000000007394: D3B140FA 1803F532
	v_mov_b32_e32 v50, v26                                     // 00000000739C: 7E64031A
	v_mov_b32_e32 v51, v26                                     // 0000000073A0: 7E66031A
	v_pk_mul_f32 v[228:229], v[50:51], v[228:229]              // 0000000073A4: D3B140E4 1803C932
	v_pk_mul_f32 v[230:231], v[50:51], v[230:231]              // 0000000073AC: D3B140E6 1803CD32
	v_pk_mul_f32 v[236:237], v[50:51], v[236:237]              // 0000000073B4: D3B140EC 1803D932
	v_pk_mul_f32 v[238:239], v[50:51], v[238:239]              // 0000000073BC: D3B140EE 1803DD32
	v_pk_mul_f32 v[244:245], v[50:51], v[244:245]              // 0000000073C4: D3B140F4 1803E932
	v_pk_mul_f32 v[246:247], v[50:51], v[246:247]              // 0000000073CC: D3B140F6 1803ED32
	v_pk_mul_f32 v[252:253], v[50:51], v[252:253]              // 0000000073D4: D3B140FC 1803F932
	v_pk_mul_f32 v[254:255], v[50:51], v[254:255]              // 0000000073DC: D3B140FE 1803FD32
	v_cmp_u_f32_e64 s[48:49], v224, v224                       // 0000000073E4: D0480030 0003C1E0
	v_add3_u32 v46, v224, v49, 1                               // 0000000073EC: D1FF002E 020663E0
	v_cndmask_b32_e64 v50, v46, v48, s[48:49]                  // 0000000073F4: D1000032 00C2612E
	v_cmp_u_f32_e64 s[48:49], v225, v225                       // 0000000073FC: D0480030 0003C3E1
	v_add3_u32 v46, v225, v49, 1                               // 000000007404: D1FF002E 020663E1
	v_cndmask_b32_e64 v51, v46, v48, s[48:49]                  // 00000000740C: D1000033 00C2612E
	v_perm_b32 v224, v51, v50, s52                             // 000000007414: D1ED00E0 00D26533
	v_cmp_u_f32_e64 s[48:49], v226, v226                       // 00000000741C: D0480030 0003C5E2
	v_add3_u32 v46, v226, v49, 1                               // 000000007424: D1FF002E 020663E2
	v_cndmask_b32_e64 v50, v46, v48, s[48:49]                  // 00000000742C: D1000032 00C2612E
	v_cmp_u_f32_e64 s[48:49], v227, v227                       // 000000007434: D0480030 0003C7E3
	v_add3_u32 v46, v227, v49, 1                               // 00000000743C: D1FF002E 020663E3
	v_cndmask_b32_e64 v51, v46, v48, s[48:49]                  // 000000007444: D1000033 00C2612E
	v_perm_b32 v225, v51, v50, s52                             // 00000000744C: D1ED00E1 00D26533
	v_cmp_u_f32_e64 s[48:49], v228, v228                       // 000000007454: D0480030 0003C9E4
	v_add3_u32 v46, v228, v49, 1                               // 00000000745C: D1FF002E 020663E4
	v_cndmask_b32_e64 v50, v46, v48, s[48:49]                  // 000000007464: D1000032 00C2612E
	v_cmp_u_f32_e64 s[48:49], v229, v229                       // 00000000746C: D0480030 0003CBE5
	v_add3_u32 v46, v229, v49, 1                               // 000000007474: D1FF002E 020663E5
	v_cndmask_b32_e64 v51, v46, v48, s[48:49]                  // 00000000747C: D1000033 00C2612E
	v_perm_b32 v226, v51, v50, s52                             // 000000007484: D1ED00E2 00D26533
	v_cmp_u_f32_e64 s[48:49], v230, v230                       // 00000000748C: D0480030 0003CDE6
	v_add3_u32 v46, v230, v49, 1                               // 000000007494: D1FF002E 020663E6
	v_cndmask_b32_e64 v50, v46, v48, s[48:49]                  // 00000000749C: D1000032 00C2612E
	v_cmp_u_f32_e64 s[48:49], v231, v231                       // 0000000074A4: D0480030 0003CFE7
	v_add3_u32 v46, v231, v49, 1                               // 0000000074AC: D1FF002E 020663E7
	v_cndmask_b32_e64 v51, v46, v48, s[48:49]                  // 0000000074B4: D1000033 00C2612E
	v_perm_b32 v227, v51, v50, s52                             // 0000000074BC: D1ED00E3 00D26533
	v_cmp_u_f32_e64 s[48:49], v232, v232                       // 0000000074C4: D0480030 0003D1E8
	v_add3_u32 v46, v232, v49, 1                               // 0000000074CC: D1FF002E 020663E8
	v_cndmask_b32_e64 v50, v46, v48, s[48:49]                  // 0000000074D4: D1000032 00C2612E
	v_cmp_u_f32_e64 s[48:49], v233, v233                       // 0000000074DC: D0480030 0003D3E9
	v_add3_u32 v46, v233, v49, 1                               // 0000000074E4: D1FF002E 020663E9
	v_cndmask_b32_e64 v51, v46, v48, s[48:49]                  // 0000000074EC: D1000033 00C2612E
	v_perm_b32 v228, v51, v50, s52                             // 0000000074F4: D1ED00E4 00D26533
	v_cmp_u_f32_e64 s[48:49], v234, v234                       // 0000000074FC: D0480030 0003D5EA
	v_add3_u32 v46, v234, v49, 1                               // 000000007504: D1FF002E 020663EA
	v_cndmask_b32_e64 v50, v46, v48, s[48:49]                  // 00000000750C: D1000032 00C2612E
	v_cmp_u_f32_e64 s[48:49], v235, v235                       // 000000007514: D0480030 0003D7EB
	v_add3_u32 v46, v235, v49, 1                               // 00000000751C: D1FF002E 020663EB
	v_cndmask_b32_e64 v51, v46, v48, s[48:49]                  // 000000007524: D1000033 00C2612E
	v_perm_b32 v229, v51, v50, s52                             // 00000000752C: D1ED00E5 00D26533
	v_cmp_u_f32_e64 s[48:49], v236, v236                       // 000000007534: D0480030 0003D9EC
	v_add3_u32 v46, v236, v49, 1                               // 00000000753C: D1FF002E 020663EC
	v_cndmask_b32_e64 v50, v46, v48, s[48:49]                  // 000000007544: D1000032 00C2612E
	v_cmp_u_f32_e64 s[48:49], v237, v237                       // 00000000754C: D0480030 0003DBED
	v_add3_u32 v46, v237, v49, 1                               // 000000007554: D1FF002E 020663ED
	v_cndmask_b32_e64 v51, v46, v48, s[48:49]                  // 00000000755C: D1000033 00C2612E
	v_perm_b32 v230, v51, v50, s52                             // 000000007564: D1ED00E6 00D26533
	v_cmp_u_f32_e64 s[48:49], v238, v238                       // 00000000756C: D0480030 0003DDEE
	v_add3_u32 v46, v238, v49, 1                               // 000000007574: D1FF002E 020663EE
	v_cndmask_b32_e64 v50, v46, v48, s[48:49]                  // 00000000757C: D1000032 00C2612E
	v_cmp_u_f32_e64 s[48:49], v239, v239                       // 000000007584: D0480030 0003DFEF
	v_add3_u32 v46, v239, v49, 1                               // 00000000758C: D1FF002E 020663EF
	v_cndmask_b32_e64 v51, v46, v48, s[48:49]                  // 000000007594: D1000033 00C2612E
	v_perm_b32 v231, v51, v50, s52                             // 00000000759C: D1ED00E7 00D26533
	v_cmp_u_f32_e64 s[48:49], v240, v240                       // 0000000075A4: D0480030 0003E1F0
	v_add3_u32 v46, v240, v49, 1                               // 0000000075AC: D1FF002E 020663F0
	v_cndmask_b32_e64 v50, v46, v48, s[48:49]                  // 0000000075B4: D1000032 00C2612E
	v_cmp_u_f32_e64 s[48:49], v241, v241                       // 0000000075BC: D0480030 0003E3F1
	v_add3_u32 v46, v241, v49, 1                               // 0000000075C4: D1FF002E 020663F1
	v_cndmask_b32_e64 v51, v46, v48, s[48:49]                  // 0000000075CC: D1000033 00C2612E
	v_perm_b32 v232, v51, v50, s52                             // 0000000075D4: D1ED00E8 00D26533
	v_cmp_u_f32_e64 s[48:49], v242, v242                       // 0000000075DC: D0480030 0003E5F2
	v_add3_u32 v46, v242, v49, 1                               // 0000000075E4: D1FF002E 020663F2
	v_cndmask_b32_e64 v50, v46, v48, s[48:49]                  // 0000000075EC: D1000032 00C2612E
	v_cmp_u_f32_e64 s[48:49], v243, v243                       // 0000000075F4: D0480030 0003E7F3
	v_add3_u32 v46, v243, v49, 1                               // 0000000075FC: D1FF002E 020663F3
	v_cndmask_b32_e64 v51, v46, v48, s[48:49]                  // 000000007604: D1000033 00C2612E
	v_perm_b32 v233, v51, v50, s52                             // 00000000760C: D1ED00E9 00D26533
	v_cmp_u_f32_e64 s[48:49], v244, v244                       // 000000007614: D0480030 0003E9F4
	v_add3_u32 v46, v244, v49, 1                               // 00000000761C: D1FF002E 020663F4
	v_cndmask_b32_e64 v50, v46, v48, s[48:49]                  // 000000007624: D1000032 00C2612E
	v_cmp_u_f32_e64 s[48:49], v245, v245                       // 00000000762C: D0480030 0003EBF5
	v_add3_u32 v46, v245, v49, 1                               // 000000007634: D1FF002E 020663F5
	v_cndmask_b32_e64 v51, v46, v48, s[48:49]                  // 00000000763C: D1000033 00C2612E
	v_perm_b32 v234, v51, v50, s52                             // 000000007644: D1ED00EA 00D26533
	v_cmp_u_f32_e64 s[48:49], v246, v246                       // 00000000764C: D0480030 0003EDF6
	v_add3_u32 v46, v246, v49, 1                               // 000000007654: D1FF002E 020663F6
	v_cndmask_b32_e64 v50, v46, v48, s[48:49]                  // 00000000765C: D1000032 00C2612E
	v_cmp_u_f32_e64 s[48:49], v247, v247                       // 000000007664: D0480030 0003EFF7
	v_add3_u32 v46, v247, v49, 1                               // 00000000766C: D1FF002E 020663F7
	v_cndmask_b32_e64 v51, v46, v48, s[48:49]                  // 000000007674: D1000033 00C2612E
	v_perm_b32 v235, v51, v50, s52                             // 00000000767C: D1ED00EB 00D26533
	v_cmp_u_f32_e64 s[48:49], v248, v248                       // 000000007684: D0480030 0003F1F8
	v_add3_u32 v46, v248, v49, 1                               // 00000000768C: D1FF002E 020663F8
	v_cndmask_b32_e64 v50, v46, v48, s[48:49]                  // 000000007694: D1000032 00C2612E
	v_cmp_u_f32_e64 s[48:49], v249, v249                       // 00000000769C: D0480030 0003F3F9
	v_add3_u32 v46, v249, v49, 1                               // 0000000076A4: D1FF002E 020663F9
	v_cndmask_b32_e64 v51, v46, v48, s[48:49]                  // 0000000076AC: D1000033 00C2612E
	v_perm_b32 v236, v51, v50, s52                             // 0000000076B4: D1ED00EC 00D26533
	v_cmp_u_f32_e64 s[48:49], v250, v250                       // 0000000076BC: D0480030 0003F5FA
	v_add3_u32 v46, v250, v49, 1                               // 0000000076C4: D1FF002E 020663FA
	v_cndmask_b32_e64 v50, v46, v48, s[48:49]                  // 0000000076CC: D1000032 00C2612E
	v_cmp_u_f32_e64 s[48:49], v251, v251                       // 0000000076D4: D0480030 0003F7FB
	v_add3_u32 v46, v251, v49, 1                               // 0000000076DC: D1FF002E 020663FB
	v_cndmask_b32_e64 v51, v46, v48, s[48:49]                  // 0000000076E4: D1000033 00C2612E
	v_perm_b32 v237, v51, v50, s52                             // 0000000076EC: D1ED00ED 00D26533
	v_cmp_u_f32_e64 s[48:49], v252, v252                       // 0000000076F4: D0480030 0003F9FC
	v_add3_u32 v46, v252, v49, 1                               // 0000000076FC: D1FF002E 020663FC
	v_cndmask_b32_e64 v50, v46, v48, s[48:49]                  // 000000007704: D1000032 00C2612E
	v_cmp_u_f32_e64 s[48:49], v253, v253                       // 00000000770C: D0480030 0003FBFD
	v_add3_u32 v46, v253, v49, 1                               // 000000007714: D1FF002E 020663FD
	v_cndmask_b32_e64 v51, v46, v48, s[48:49]                  // 00000000771C: D1000033 00C2612E
	v_perm_b32 v238, v51, v50, s52                             // 000000007724: D1ED00EE 00D26533
	v_cmp_u_f32_e64 s[48:49], v254, v254                       // 00000000772C: D0480030 0003FDFE
	v_add3_u32 v46, v254, v49, 1                               // 000000007734: D1FF002E 020663FE
	v_cndmask_b32_e64 v50, v46, v48, s[48:49]                  // 00000000773C: D1000032 00C2612E
	v_cmp_u_f32_e64 s[48:49], v255, v255                       // 000000007744: D0480030 0003FFFF
	v_add3_u32 v46, v255, v49, 1                               // 00000000774C: D1FF002E 020663FF
	v_cndmask_b32_e64 v51, v46, v48, s[48:49]                  // 000000007754: D1000033 00C2612E
	v_perm_b32 v239, v51, v50, s52                             // 00000000775C: D1ED00EF 00D26533
	ds_write_b64 v4, v[224:225] offset:24832                   // 000000007764: D89A6100 0000E004
	ds_write_b64 v4, v[226:227] offset:33536                   // 00000000776C: D89A8300 0000E204
	ds_write_b64 v4, v[228:229] offset:27008                   // 000000007774: D89A6980 0000E404
	ds_write_b64 v4, v[230:231] offset:35712                   // 00000000777C: D89A8B80 0000E604
	ds_write_b64 v4, v[232:233] offset:29184                   // 000000007784: D89A7200 0000E804
	ds_write_b64 v4, v[234:235] offset:37888                   // 00000000778C: D89A9400 0000EA04
	ds_write_b64 v4, v[236:237] offset:31360                   // 000000007794: D89A7A80 0000EC04
	ds_write_b64 v4, v[238:239] offset:40064                   // 00000000779C: D89A9C80 0000EE04
	s_waitcnt lgkmcnt(0)                                       // 0000000077A4: BF8CC07F
	s_barrier                                                  // 0000000077A8: BF8A0000
	ds_read_b32 v64, v5 offset:24832                           // 0000000077AC: D86C6100 40000005
	ds_read_b32 v65, v5 offset:29184                           // 0000000077B4: D86C7200 41000005
	ds_read_b32 v66, v5 offset:24864                           // 0000000077BC: D86C6120 42000005
	ds_read_b32 v67, v5 offset:29216                           // 0000000077C4: D86C7220 43000005
	ds_read_b32 v68, v5 offset:24896                           // 0000000077CC: D86C6140 44000005
	ds_read_b32 v69, v5 offset:29248                           // 0000000077D4: D86C7240 45000005
	ds_read_b32 v70, v5 offset:24928                           // 0000000077DC: D86C6160 46000005
	ds_read_b32 v71, v5 offset:29280                           // 0000000077E4: D86C7260 47000005
	ds_read_b32 v72, v5 offset:33536                           // 0000000077EC: D86C8300 48000005
	ds_read_b32 v73, v5 offset:37888                           // 0000000077F4: D86C9400 49000005
	ds_read_b32 v74, v5 offset:33568                           // 0000000077FC: D86C8320 4A000005
	ds_read_b32 v75, v5 offset:37920                           // 000000007804: D86C9420 4B000005
	ds_read_b32 v76, v5 offset:33600                           // 00000000780C: D86C8340 4C000005
	ds_read_b32 v77, v5 offset:37952                           // 000000007814: D86C9440 4D000005
	ds_read_b32 v78, v5 offset:33632                           // 00000000781C: D86C8360 4E000005
	ds_read_b32 v79, v5 offset:37984                           // 000000007824: D86C9460 4F000005
	s_waitcnt lgkmcnt(0)                                       // 00000000782C: BF8CC07F
	s_mov_b64 exec, s[20:21]                                   // 000000007830: BEFE0114
	global_atomic_pk_add_bf16 v80, v64, s[8:9]                 // 000000007834: DD488000 00084050
	s_mov_b64 exec, s[36:37]                                   // 00000000783C: BEFE0124
	s_mov_b64 exec, s[20:21]                                   // 000000007840: BEFE0114
	global_atomic_pk_add_bf16 v80, v65, s[8:9] offset:256      // 000000007844: DD488100 00084150
	s_mov_b64 exec, s[36:37]                                   // 00000000784C: BEFE0124
	s_mov_b64 exec, s[22:23]                                   // 000000007850: BEFE0116
	global_atomic_pk_add_bf16 v82, v66, s[8:9]                 // 000000007854: DD488000 00084252
	s_mov_b64 exec, s[36:37]                                   // 00000000785C: BEFE0124
	s_mov_b64 exec, s[22:23]                                   // 000000007860: BEFE0116
	global_atomic_pk_add_bf16 v82, v67, s[8:9] offset:256      // 000000007864: DD488100 00084352
	s_mov_b64 exec, s[36:37]                                   // 00000000786C: BEFE0124
	s_mov_b64 exec, s[24:25]                                   // 000000007870: BEFE0118
	global_atomic_pk_add_bf16 v84, v68, s[8:9]                 // 000000007874: DD488000 00084454
	s_mov_b64 exec, s[36:37]                                   // 00000000787C: BEFE0124
	s_mov_b64 exec, s[24:25]                                   // 000000007880: BEFE0118
	global_atomic_pk_add_bf16 v84, v69, s[8:9] offset:256      // 000000007884: DD488100 00084554
	s_mov_b64 exec, s[36:37]                                   // 00000000788C: BEFE0124
	s_mov_b64 exec, s[26:27]                                   // 000000007890: BEFE011A
	global_atomic_pk_add_bf16 v86, v70, s[8:9]                 // 000000007894: DD488000 00084656
	s_mov_b64 exec, s[36:37]                                   // 00000000789C: BEFE0124
	s_mov_b64 exec, s[26:27]                                   // 0000000078A0: BEFE011A
	global_atomic_pk_add_bf16 v86, v71, s[8:9] offset:256      // 0000000078A4: DD488100 00084756
	s_mov_b64 exec, s[36:37]                                   // 0000000078AC: BEFE0124
	s_mov_b64 exec, s[28:29]                                   // 0000000078B0: BEFE011C
	global_atomic_pk_add_bf16 v88, v72, s[8:9]                 // 0000000078B4: DD488000 00084858
	s_mov_b64 exec, s[36:37]                                   // 0000000078BC: BEFE0124
	s_mov_b64 exec, s[28:29]                                   // 0000000078C0: BEFE011C
	global_atomic_pk_add_bf16 v88, v73, s[8:9] offset:256      // 0000000078C4: DD488100 00084958
	s_mov_b64 exec, s[36:37]                                   // 0000000078CC: BEFE0124
	s_mov_b64 exec, s[30:31]                                   // 0000000078D0: BEFE011E
	global_atomic_pk_add_bf16 v90, v74, s[8:9]                 // 0000000078D4: DD488000 00084A5A
	s_mov_b64 exec, s[36:37]                                   // 0000000078DC: BEFE0124
	s_mov_b64 exec, s[30:31]                                   // 0000000078E0: BEFE011E
	global_atomic_pk_add_bf16 v90, v75, s[8:9] offset:256      // 0000000078E4: DD488100 00084B5A
	s_mov_b64 exec, s[36:37]                                   // 0000000078EC: BEFE0124
	s_mov_b64 exec, s[32:33]                                   // 0000000078F0: BEFE0120
	global_atomic_pk_add_bf16 v92, v76, s[8:9]                 // 0000000078F4: DD488000 00084C5C
	s_mov_b64 exec, s[36:37]                                   // 0000000078FC: BEFE0124
	s_mov_b64 exec, s[32:33]                                   // 000000007900: BEFE0120
	global_atomic_pk_add_bf16 v92, v77, s[8:9] offset:256      // 000000007904: DD488100 00084D5C
	s_mov_b64 exec, s[36:37]                                   // 00000000790C: BEFE0124
	s_mov_b64 exec, s[34:35]                                   // 000000007910: BEFE0122
	global_atomic_pk_add_bf16 v94, v78, s[8:9]                 // 000000007914: DD488000 00084E5E
	s_mov_b64 exec, s[36:37]                                   // 00000000791C: BEFE0124
	s_mov_b64 exec, s[34:35]                                   // 000000007920: BEFE0122
	global_atomic_pk_add_bf16 v94, v79, s[8:9] offset:256      // 000000007924: DD488100 00084F5E
	s_mov_b64 exec, s[36:37]                                   // 00000000792C: BEFE0124
	s_add_u32 s8, s59, s8                                      // 000000007930: 8008083B
	s_addc_u32 s9, 0, s9                                       // 000000007934: 82090980
	s_addk_i32 s80, 0x100                                      // 000000007938: B7500100
	s_cmp_lt_i32 s80, s81                                      // 00000000793C: BF045150
	s_cbranch_scc0 label_0A8F                                  // 000000007940: BF84F7BE
	s_branch label_0EBF                                        // 000000007944: BF82FBED

0000000000007948 <label_12D2>:
	s_waitcnt vmcnt(0) expcnt(0) lgkmcnt(0)                    // 000000007948: BF8C0000
	s_endpgm                                                   // 00000000794C: BF810000
